;; amdgpu-corpus repo=ROCm/rocThrust kind=compiled arch=gfx906 opt=O3
	.amdgcn_target "amdgcn-amd-amdhsa--gfx906"
	.amdhsa_code_object_version 6
	.section	.text._ZN7rocprim17ROCPRIM_400000_NS6detail17trampoline_kernelINS0_14default_configENS1_22reduce_config_selectorIfEEZNS1_11reduce_implILb1ES3_PfS7_fN6thrust23THRUST_200600_302600_NS4plusIfEEEE10hipError_tPvRmT1_T2_T3_mT4_P12ihipStream_tbEUlT_E0_NS1_11comp_targetILNS1_3genE0ELNS1_11target_archE4294967295ELNS1_3gpuE0ELNS1_3repE0EEENS1_30default_config_static_selectorELNS0_4arch9wavefront6targetE1EEEvSF_,"axG",@progbits,_ZN7rocprim17ROCPRIM_400000_NS6detail17trampoline_kernelINS0_14default_configENS1_22reduce_config_selectorIfEEZNS1_11reduce_implILb1ES3_PfS7_fN6thrust23THRUST_200600_302600_NS4plusIfEEEE10hipError_tPvRmT1_T2_T3_mT4_P12ihipStream_tbEUlT_E0_NS1_11comp_targetILNS1_3genE0ELNS1_11target_archE4294967295ELNS1_3gpuE0ELNS1_3repE0EEENS1_30default_config_static_selectorELNS0_4arch9wavefront6targetE1EEEvSF_,comdat
	.protected	_ZN7rocprim17ROCPRIM_400000_NS6detail17trampoline_kernelINS0_14default_configENS1_22reduce_config_selectorIfEEZNS1_11reduce_implILb1ES3_PfS7_fN6thrust23THRUST_200600_302600_NS4plusIfEEEE10hipError_tPvRmT1_T2_T3_mT4_P12ihipStream_tbEUlT_E0_NS1_11comp_targetILNS1_3genE0ELNS1_11target_archE4294967295ELNS1_3gpuE0ELNS1_3repE0EEENS1_30default_config_static_selectorELNS0_4arch9wavefront6targetE1EEEvSF_ ; -- Begin function _ZN7rocprim17ROCPRIM_400000_NS6detail17trampoline_kernelINS0_14default_configENS1_22reduce_config_selectorIfEEZNS1_11reduce_implILb1ES3_PfS7_fN6thrust23THRUST_200600_302600_NS4plusIfEEEE10hipError_tPvRmT1_T2_T3_mT4_P12ihipStream_tbEUlT_E0_NS1_11comp_targetILNS1_3genE0ELNS1_11target_archE4294967295ELNS1_3gpuE0ELNS1_3repE0EEENS1_30default_config_static_selectorELNS0_4arch9wavefront6targetE1EEEvSF_
	.globl	_ZN7rocprim17ROCPRIM_400000_NS6detail17trampoline_kernelINS0_14default_configENS1_22reduce_config_selectorIfEEZNS1_11reduce_implILb1ES3_PfS7_fN6thrust23THRUST_200600_302600_NS4plusIfEEEE10hipError_tPvRmT1_T2_T3_mT4_P12ihipStream_tbEUlT_E0_NS1_11comp_targetILNS1_3genE0ELNS1_11target_archE4294967295ELNS1_3gpuE0ELNS1_3repE0EEENS1_30default_config_static_selectorELNS0_4arch9wavefront6targetE1EEEvSF_
	.p2align	8
	.type	_ZN7rocprim17ROCPRIM_400000_NS6detail17trampoline_kernelINS0_14default_configENS1_22reduce_config_selectorIfEEZNS1_11reduce_implILb1ES3_PfS7_fN6thrust23THRUST_200600_302600_NS4plusIfEEEE10hipError_tPvRmT1_T2_T3_mT4_P12ihipStream_tbEUlT_E0_NS1_11comp_targetILNS1_3genE0ELNS1_11target_archE4294967295ELNS1_3gpuE0ELNS1_3repE0EEENS1_30default_config_static_selectorELNS0_4arch9wavefront6targetE1EEEvSF_,@function
_ZN7rocprim17ROCPRIM_400000_NS6detail17trampoline_kernelINS0_14default_configENS1_22reduce_config_selectorIfEEZNS1_11reduce_implILb1ES3_PfS7_fN6thrust23THRUST_200600_302600_NS4plusIfEEEE10hipError_tPvRmT1_T2_T3_mT4_P12ihipStream_tbEUlT_E0_NS1_11comp_targetILNS1_3genE0ELNS1_11target_archE4294967295ELNS1_3gpuE0ELNS1_3repE0EEENS1_30default_config_static_selectorELNS0_4arch9wavefront6targetE1EEEvSF_: ; @_ZN7rocprim17ROCPRIM_400000_NS6detail17trampoline_kernelINS0_14default_configENS1_22reduce_config_selectorIfEEZNS1_11reduce_implILb1ES3_PfS7_fN6thrust23THRUST_200600_302600_NS4plusIfEEEE10hipError_tPvRmT1_T2_T3_mT4_P12ihipStream_tbEUlT_E0_NS1_11comp_targetILNS1_3genE0ELNS1_11target_archE4294967295ELNS1_3gpuE0ELNS1_3repE0EEENS1_30default_config_static_selectorELNS0_4arch9wavefront6targetE1EEEvSF_
; %bb.0:
	.section	.rodata,"a",@progbits
	.p2align	6, 0x0
	.amdhsa_kernel _ZN7rocprim17ROCPRIM_400000_NS6detail17trampoline_kernelINS0_14default_configENS1_22reduce_config_selectorIfEEZNS1_11reduce_implILb1ES3_PfS7_fN6thrust23THRUST_200600_302600_NS4plusIfEEEE10hipError_tPvRmT1_T2_T3_mT4_P12ihipStream_tbEUlT_E0_NS1_11comp_targetILNS1_3genE0ELNS1_11target_archE4294967295ELNS1_3gpuE0ELNS1_3repE0EEENS1_30default_config_static_selectorELNS0_4arch9wavefront6targetE1EEEvSF_
		.amdhsa_group_segment_fixed_size 0
		.amdhsa_private_segment_fixed_size 0
		.amdhsa_kernarg_size 56
		.amdhsa_user_sgpr_count 6
		.amdhsa_user_sgpr_private_segment_buffer 1
		.amdhsa_user_sgpr_dispatch_ptr 0
		.amdhsa_user_sgpr_queue_ptr 0
		.amdhsa_user_sgpr_kernarg_segment_ptr 1
		.amdhsa_user_sgpr_dispatch_id 0
		.amdhsa_user_sgpr_flat_scratch_init 0
		.amdhsa_user_sgpr_private_segment_size 0
		.amdhsa_uses_dynamic_stack 0
		.amdhsa_system_sgpr_private_segment_wavefront_offset 0
		.amdhsa_system_sgpr_workgroup_id_x 1
		.amdhsa_system_sgpr_workgroup_id_y 0
		.amdhsa_system_sgpr_workgroup_id_z 0
		.amdhsa_system_sgpr_workgroup_info 0
		.amdhsa_system_vgpr_workitem_id 0
		.amdhsa_next_free_vgpr 1
		.amdhsa_next_free_sgpr 0
		.amdhsa_reserve_vcc 0
		.amdhsa_reserve_flat_scratch 0
		.amdhsa_float_round_mode_32 0
		.amdhsa_float_round_mode_16_64 0
		.amdhsa_float_denorm_mode_32 3
		.amdhsa_float_denorm_mode_16_64 3
		.amdhsa_dx10_clamp 1
		.amdhsa_ieee_mode 1
		.amdhsa_fp16_overflow 0
		.amdhsa_exception_fp_ieee_invalid_op 0
		.amdhsa_exception_fp_denorm_src 0
		.amdhsa_exception_fp_ieee_div_zero 0
		.amdhsa_exception_fp_ieee_overflow 0
		.amdhsa_exception_fp_ieee_underflow 0
		.amdhsa_exception_fp_ieee_inexact 0
		.amdhsa_exception_int_div_zero 0
	.end_amdhsa_kernel
	.section	.text._ZN7rocprim17ROCPRIM_400000_NS6detail17trampoline_kernelINS0_14default_configENS1_22reduce_config_selectorIfEEZNS1_11reduce_implILb1ES3_PfS7_fN6thrust23THRUST_200600_302600_NS4plusIfEEEE10hipError_tPvRmT1_T2_T3_mT4_P12ihipStream_tbEUlT_E0_NS1_11comp_targetILNS1_3genE0ELNS1_11target_archE4294967295ELNS1_3gpuE0ELNS1_3repE0EEENS1_30default_config_static_selectorELNS0_4arch9wavefront6targetE1EEEvSF_,"axG",@progbits,_ZN7rocprim17ROCPRIM_400000_NS6detail17trampoline_kernelINS0_14default_configENS1_22reduce_config_selectorIfEEZNS1_11reduce_implILb1ES3_PfS7_fN6thrust23THRUST_200600_302600_NS4plusIfEEEE10hipError_tPvRmT1_T2_T3_mT4_P12ihipStream_tbEUlT_E0_NS1_11comp_targetILNS1_3genE0ELNS1_11target_archE4294967295ELNS1_3gpuE0ELNS1_3repE0EEENS1_30default_config_static_selectorELNS0_4arch9wavefront6targetE1EEEvSF_,comdat
.Lfunc_end0:
	.size	_ZN7rocprim17ROCPRIM_400000_NS6detail17trampoline_kernelINS0_14default_configENS1_22reduce_config_selectorIfEEZNS1_11reduce_implILb1ES3_PfS7_fN6thrust23THRUST_200600_302600_NS4plusIfEEEE10hipError_tPvRmT1_T2_T3_mT4_P12ihipStream_tbEUlT_E0_NS1_11comp_targetILNS1_3genE0ELNS1_11target_archE4294967295ELNS1_3gpuE0ELNS1_3repE0EEENS1_30default_config_static_selectorELNS0_4arch9wavefront6targetE1EEEvSF_, .Lfunc_end0-_ZN7rocprim17ROCPRIM_400000_NS6detail17trampoline_kernelINS0_14default_configENS1_22reduce_config_selectorIfEEZNS1_11reduce_implILb1ES3_PfS7_fN6thrust23THRUST_200600_302600_NS4plusIfEEEE10hipError_tPvRmT1_T2_T3_mT4_P12ihipStream_tbEUlT_E0_NS1_11comp_targetILNS1_3genE0ELNS1_11target_archE4294967295ELNS1_3gpuE0ELNS1_3repE0EEENS1_30default_config_static_selectorELNS0_4arch9wavefront6targetE1EEEvSF_
                                        ; -- End function
	.set _ZN7rocprim17ROCPRIM_400000_NS6detail17trampoline_kernelINS0_14default_configENS1_22reduce_config_selectorIfEEZNS1_11reduce_implILb1ES3_PfS7_fN6thrust23THRUST_200600_302600_NS4plusIfEEEE10hipError_tPvRmT1_T2_T3_mT4_P12ihipStream_tbEUlT_E0_NS1_11comp_targetILNS1_3genE0ELNS1_11target_archE4294967295ELNS1_3gpuE0ELNS1_3repE0EEENS1_30default_config_static_selectorELNS0_4arch9wavefront6targetE1EEEvSF_.num_vgpr, 0
	.set _ZN7rocprim17ROCPRIM_400000_NS6detail17trampoline_kernelINS0_14default_configENS1_22reduce_config_selectorIfEEZNS1_11reduce_implILb1ES3_PfS7_fN6thrust23THRUST_200600_302600_NS4plusIfEEEE10hipError_tPvRmT1_T2_T3_mT4_P12ihipStream_tbEUlT_E0_NS1_11comp_targetILNS1_3genE0ELNS1_11target_archE4294967295ELNS1_3gpuE0ELNS1_3repE0EEENS1_30default_config_static_selectorELNS0_4arch9wavefront6targetE1EEEvSF_.num_agpr, 0
	.set _ZN7rocprim17ROCPRIM_400000_NS6detail17trampoline_kernelINS0_14default_configENS1_22reduce_config_selectorIfEEZNS1_11reduce_implILb1ES3_PfS7_fN6thrust23THRUST_200600_302600_NS4plusIfEEEE10hipError_tPvRmT1_T2_T3_mT4_P12ihipStream_tbEUlT_E0_NS1_11comp_targetILNS1_3genE0ELNS1_11target_archE4294967295ELNS1_3gpuE0ELNS1_3repE0EEENS1_30default_config_static_selectorELNS0_4arch9wavefront6targetE1EEEvSF_.numbered_sgpr, 0
	.set _ZN7rocprim17ROCPRIM_400000_NS6detail17trampoline_kernelINS0_14default_configENS1_22reduce_config_selectorIfEEZNS1_11reduce_implILb1ES3_PfS7_fN6thrust23THRUST_200600_302600_NS4plusIfEEEE10hipError_tPvRmT1_T2_T3_mT4_P12ihipStream_tbEUlT_E0_NS1_11comp_targetILNS1_3genE0ELNS1_11target_archE4294967295ELNS1_3gpuE0ELNS1_3repE0EEENS1_30default_config_static_selectorELNS0_4arch9wavefront6targetE1EEEvSF_.num_named_barrier, 0
	.set _ZN7rocprim17ROCPRIM_400000_NS6detail17trampoline_kernelINS0_14default_configENS1_22reduce_config_selectorIfEEZNS1_11reduce_implILb1ES3_PfS7_fN6thrust23THRUST_200600_302600_NS4plusIfEEEE10hipError_tPvRmT1_T2_T3_mT4_P12ihipStream_tbEUlT_E0_NS1_11comp_targetILNS1_3genE0ELNS1_11target_archE4294967295ELNS1_3gpuE0ELNS1_3repE0EEENS1_30default_config_static_selectorELNS0_4arch9wavefront6targetE1EEEvSF_.private_seg_size, 0
	.set _ZN7rocprim17ROCPRIM_400000_NS6detail17trampoline_kernelINS0_14default_configENS1_22reduce_config_selectorIfEEZNS1_11reduce_implILb1ES3_PfS7_fN6thrust23THRUST_200600_302600_NS4plusIfEEEE10hipError_tPvRmT1_T2_T3_mT4_P12ihipStream_tbEUlT_E0_NS1_11comp_targetILNS1_3genE0ELNS1_11target_archE4294967295ELNS1_3gpuE0ELNS1_3repE0EEENS1_30default_config_static_selectorELNS0_4arch9wavefront6targetE1EEEvSF_.uses_vcc, 0
	.set _ZN7rocprim17ROCPRIM_400000_NS6detail17trampoline_kernelINS0_14default_configENS1_22reduce_config_selectorIfEEZNS1_11reduce_implILb1ES3_PfS7_fN6thrust23THRUST_200600_302600_NS4plusIfEEEE10hipError_tPvRmT1_T2_T3_mT4_P12ihipStream_tbEUlT_E0_NS1_11comp_targetILNS1_3genE0ELNS1_11target_archE4294967295ELNS1_3gpuE0ELNS1_3repE0EEENS1_30default_config_static_selectorELNS0_4arch9wavefront6targetE1EEEvSF_.uses_flat_scratch, 0
	.set _ZN7rocprim17ROCPRIM_400000_NS6detail17trampoline_kernelINS0_14default_configENS1_22reduce_config_selectorIfEEZNS1_11reduce_implILb1ES3_PfS7_fN6thrust23THRUST_200600_302600_NS4plusIfEEEE10hipError_tPvRmT1_T2_T3_mT4_P12ihipStream_tbEUlT_E0_NS1_11comp_targetILNS1_3genE0ELNS1_11target_archE4294967295ELNS1_3gpuE0ELNS1_3repE0EEENS1_30default_config_static_selectorELNS0_4arch9wavefront6targetE1EEEvSF_.has_dyn_sized_stack, 0
	.set _ZN7rocprim17ROCPRIM_400000_NS6detail17trampoline_kernelINS0_14default_configENS1_22reduce_config_selectorIfEEZNS1_11reduce_implILb1ES3_PfS7_fN6thrust23THRUST_200600_302600_NS4plusIfEEEE10hipError_tPvRmT1_T2_T3_mT4_P12ihipStream_tbEUlT_E0_NS1_11comp_targetILNS1_3genE0ELNS1_11target_archE4294967295ELNS1_3gpuE0ELNS1_3repE0EEENS1_30default_config_static_selectorELNS0_4arch9wavefront6targetE1EEEvSF_.has_recursion, 0
	.set _ZN7rocprim17ROCPRIM_400000_NS6detail17trampoline_kernelINS0_14default_configENS1_22reduce_config_selectorIfEEZNS1_11reduce_implILb1ES3_PfS7_fN6thrust23THRUST_200600_302600_NS4plusIfEEEE10hipError_tPvRmT1_T2_T3_mT4_P12ihipStream_tbEUlT_E0_NS1_11comp_targetILNS1_3genE0ELNS1_11target_archE4294967295ELNS1_3gpuE0ELNS1_3repE0EEENS1_30default_config_static_selectorELNS0_4arch9wavefront6targetE1EEEvSF_.has_indirect_call, 0
	.section	.AMDGPU.csdata,"",@progbits
; Kernel info:
; codeLenInByte = 0
; TotalNumSgprs: 4
; NumVgprs: 0
; ScratchSize: 0
; MemoryBound: 0
; FloatMode: 240
; IeeeMode: 1
; LDSByteSize: 0 bytes/workgroup (compile time only)
; SGPRBlocks: 0
; VGPRBlocks: 0
; NumSGPRsForWavesPerEU: 4
; NumVGPRsForWavesPerEU: 1
; Occupancy: 10
; WaveLimiterHint : 0
; COMPUTE_PGM_RSRC2:SCRATCH_EN: 0
; COMPUTE_PGM_RSRC2:USER_SGPR: 6
; COMPUTE_PGM_RSRC2:TRAP_HANDLER: 0
; COMPUTE_PGM_RSRC2:TGID_X_EN: 1
; COMPUTE_PGM_RSRC2:TGID_Y_EN: 0
; COMPUTE_PGM_RSRC2:TGID_Z_EN: 0
; COMPUTE_PGM_RSRC2:TIDIG_COMP_CNT: 0
	.section	.text._ZN7rocprim17ROCPRIM_400000_NS6detail17trampoline_kernelINS0_14default_configENS1_22reduce_config_selectorIfEEZNS1_11reduce_implILb1ES3_PfS7_fN6thrust23THRUST_200600_302600_NS4plusIfEEEE10hipError_tPvRmT1_T2_T3_mT4_P12ihipStream_tbEUlT_E0_NS1_11comp_targetILNS1_3genE5ELNS1_11target_archE942ELNS1_3gpuE9ELNS1_3repE0EEENS1_30default_config_static_selectorELNS0_4arch9wavefront6targetE1EEEvSF_,"axG",@progbits,_ZN7rocprim17ROCPRIM_400000_NS6detail17trampoline_kernelINS0_14default_configENS1_22reduce_config_selectorIfEEZNS1_11reduce_implILb1ES3_PfS7_fN6thrust23THRUST_200600_302600_NS4plusIfEEEE10hipError_tPvRmT1_T2_T3_mT4_P12ihipStream_tbEUlT_E0_NS1_11comp_targetILNS1_3genE5ELNS1_11target_archE942ELNS1_3gpuE9ELNS1_3repE0EEENS1_30default_config_static_selectorELNS0_4arch9wavefront6targetE1EEEvSF_,comdat
	.protected	_ZN7rocprim17ROCPRIM_400000_NS6detail17trampoline_kernelINS0_14default_configENS1_22reduce_config_selectorIfEEZNS1_11reduce_implILb1ES3_PfS7_fN6thrust23THRUST_200600_302600_NS4plusIfEEEE10hipError_tPvRmT1_T2_T3_mT4_P12ihipStream_tbEUlT_E0_NS1_11comp_targetILNS1_3genE5ELNS1_11target_archE942ELNS1_3gpuE9ELNS1_3repE0EEENS1_30default_config_static_selectorELNS0_4arch9wavefront6targetE1EEEvSF_ ; -- Begin function _ZN7rocprim17ROCPRIM_400000_NS6detail17trampoline_kernelINS0_14default_configENS1_22reduce_config_selectorIfEEZNS1_11reduce_implILb1ES3_PfS7_fN6thrust23THRUST_200600_302600_NS4plusIfEEEE10hipError_tPvRmT1_T2_T3_mT4_P12ihipStream_tbEUlT_E0_NS1_11comp_targetILNS1_3genE5ELNS1_11target_archE942ELNS1_3gpuE9ELNS1_3repE0EEENS1_30default_config_static_selectorELNS0_4arch9wavefront6targetE1EEEvSF_
	.globl	_ZN7rocprim17ROCPRIM_400000_NS6detail17trampoline_kernelINS0_14default_configENS1_22reduce_config_selectorIfEEZNS1_11reduce_implILb1ES3_PfS7_fN6thrust23THRUST_200600_302600_NS4plusIfEEEE10hipError_tPvRmT1_T2_T3_mT4_P12ihipStream_tbEUlT_E0_NS1_11comp_targetILNS1_3genE5ELNS1_11target_archE942ELNS1_3gpuE9ELNS1_3repE0EEENS1_30default_config_static_selectorELNS0_4arch9wavefront6targetE1EEEvSF_
	.p2align	8
	.type	_ZN7rocprim17ROCPRIM_400000_NS6detail17trampoline_kernelINS0_14default_configENS1_22reduce_config_selectorIfEEZNS1_11reduce_implILb1ES3_PfS7_fN6thrust23THRUST_200600_302600_NS4plusIfEEEE10hipError_tPvRmT1_T2_T3_mT4_P12ihipStream_tbEUlT_E0_NS1_11comp_targetILNS1_3genE5ELNS1_11target_archE942ELNS1_3gpuE9ELNS1_3repE0EEENS1_30default_config_static_selectorELNS0_4arch9wavefront6targetE1EEEvSF_,@function
_ZN7rocprim17ROCPRIM_400000_NS6detail17trampoline_kernelINS0_14default_configENS1_22reduce_config_selectorIfEEZNS1_11reduce_implILb1ES3_PfS7_fN6thrust23THRUST_200600_302600_NS4plusIfEEEE10hipError_tPvRmT1_T2_T3_mT4_P12ihipStream_tbEUlT_E0_NS1_11comp_targetILNS1_3genE5ELNS1_11target_archE942ELNS1_3gpuE9ELNS1_3repE0EEENS1_30default_config_static_selectorELNS0_4arch9wavefront6targetE1EEEvSF_: ; @_ZN7rocprim17ROCPRIM_400000_NS6detail17trampoline_kernelINS0_14default_configENS1_22reduce_config_selectorIfEEZNS1_11reduce_implILb1ES3_PfS7_fN6thrust23THRUST_200600_302600_NS4plusIfEEEE10hipError_tPvRmT1_T2_T3_mT4_P12ihipStream_tbEUlT_E0_NS1_11comp_targetILNS1_3genE5ELNS1_11target_archE942ELNS1_3gpuE9ELNS1_3repE0EEENS1_30default_config_static_selectorELNS0_4arch9wavefront6targetE1EEEvSF_
; %bb.0:
	.section	.rodata,"a",@progbits
	.p2align	6, 0x0
	.amdhsa_kernel _ZN7rocprim17ROCPRIM_400000_NS6detail17trampoline_kernelINS0_14default_configENS1_22reduce_config_selectorIfEEZNS1_11reduce_implILb1ES3_PfS7_fN6thrust23THRUST_200600_302600_NS4plusIfEEEE10hipError_tPvRmT1_T2_T3_mT4_P12ihipStream_tbEUlT_E0_NS1_11comp_targetILNS1_3genE5ELNS1_11target_archE942ELNS1_3gpuE9ELNS1_3repE0EEENS1_30default_config_static_selectorELNS0_4arch9wavefront6targetE1EEEvSF_
		.amdhsa_group_segment_fixed_size 0
		.amdhsa_private_segment_fixed_size 0
		.amdhsa_kernarg_size 56
		.amdhsa_user_sgpr_count 6
		.amdhsa_user_sgpr_private_segment_buffer 1
		.amdhsa_user_sgpr_dispatch_ptr 0
		.amdhsa_user_sgpr_queue_ptr 0
		.amdhsa_user_sgpr_kernarg_segment_ptr 1
		.amdhsa_user_sgpr_dispatch_id 0
		.amdhsa_user_sgpr_flat_scratch_init 0
		.amdhsa_user_sgpr_private_segment_size 0
		.amdhsa_uses_dynamic_stack 0
		.amdhsa_system_sgpr_private_segment_wavefront_offset 0
		.amdhsa_system_sgpr_workgroup_id_x 1
		.amdhsa_system_sgpr_workgroup_id_y 0
		.amdhsa_system_sgpr_workgroup_id_z 0
		.amdhsa_system_sgpr_workgroup_info 0
		.amdhsa_system_vgpr_workitem_id 0
		.amdhsa_next_free_vgpr 1
		.amdhsa_next_free_sgpr 0
		.amdhsa_reserve_vcc 0
		.amdhsa_reserve_flat_scratch 0
		.amdhsa_float_round_mode_32 0
		.amdhsa_float_round_mode_16_64 0
		.amdhsa_float_denorm_mode_32 3
		.amdhsa_float_denorm_mode_16_64 3
		.amdhsa_dx10_clamp 1
		.amdhsa_ieee_mode 1
		.amdhsa_fp16_overflow 0
		.amdhsa_exception_fp_ieee_invalid_op 0
		.amdhsa_exception_fp_denorm_src 0
		.amdhsa_exception_fp_ieee_div_zero 0
		.amdhsa_exception_fp_ieee_overflow 0
		.amdhsa_exception_fp_ieee_underflow 0
		.amdhsa_exception_fp_ieee_inexact 0
		.amdhsa_exception_int_div_zero 0
	.end_amdhsa_kernel
	.section	.text._ZN7rocprim17ROCPRIM_400000_NS6detail17trampoline_kernelINS0_14default_configENS1_22reduce_config_selectorIfEEZNS1_11reduce_implILb1ES3_PfS7_fN6thrust23THRUST_200600_302600_NS4plusIfEEEE10hipError_tPvRmT1_T2_T3_mT4_P12ihipStream_tbEUlT_E0_NS1_11comp_targetILNS1_3genE5ELNS1_11target_archE942ELNS1_3gpuE9ELNS1_3repE0EEENS1_30default_config_static_selectorELNS0_4arch9wavefront6targetE1EEEvSF_,"axG",@progbits,_ZN7rocprim17ROCPRIM_400000_NS6detail17trampoline_kernelINS0_14default_configENS1_22reduce_config_selectorIfEEZNS1_11reduce_implILb1ES3_PfS7_fN6thrust23THRUST_200600_302600_NS4plusIfEEEE10hipError_tPvRmT1_T2_T3_mT4_P12ihipStream_tbEUlT_E0_NS1_11comp_targetILNS1_3genE5ELNS1_11target_archE942ELNS1_3gpuE9ELNS1_3repE0EEENS1_30default_config_static_selectorELNS0_4arch9wavefront6targetE1EEEvSF_,comdat
.Lfunc_end1:
	.size	_ZN7rocprim17ROCPRIM_400000_NS6detail17trampoline_kernelINS0_14default_configENS1_22reduce_config_selectorIfEEZNS1_11reduce_implILb1ES3_PfS7_fN6thrust23THRUST_200600_302600_NS4plusIfEEEE10hipError_tPvRmT1_T2_T3_mT4_P12ihipStream_tbEUlT_E0_NS1_11comp_targetILNS1_3genE5ELNS1_11target_archE942ELNS1_3gpuE9ELNS1_3repE0EEENS1_30default_config_static_selectorELNS0_4arch9wavefront6targetE1EEEvSF_, .Lfunc_end1-_ZN7rocprim17ROCPRIM_400000_NS6detail17trampoline_kernelINS0_14default_configENS1_22reduce_config_selectorIfEEZNS1_11reduce_implILb1ES3_PfS7_fN6thrust23THRUST_200600_302600_NS4plusIfEEEE10hipError_tPvRmT1_T2_T3_mT4_P12ihipStream_tbEUlT_E0_NS1_11comp_targetILNS1_3genE5ELNS1_11target_archE942ELNS1_3gpuE9ELNS1_3repE0EEENS1_30default_config_static_selectorELNS0_4arch9wavefront6targetE1EEEvSF_
                                        ; -- End function
	.set _ZN7rocprim17ROCPRIM_400000_NS6detail17trampoline_kernelINS0_14default_configENS1_22reduce_config_selectorIfEEZNS1_11reduce_implILb1ES3_PfS7_fN6thrust23THRUST_200600_302600_NS4plusIfEEEE10hipError_tPvRmT1_T2_T3_mT4_P12ihipStream_tbEUlT_E0_NS1_11comp_targetILNS1_3genE5ELNS1_11target_archE942ELNS1_3gpuE9ELNS1_3repE0EEENS1_30default_config_static_selectorELNS0_4arch9wavefront6targetE1EEEvSF_.num_vgpr, 0
	.set _ZN7rocprim17ROCPRIM_400000_NS6detail17trampoline_kernelINS0_14default_configENS1_22reduce_config_selectorIfEEZNS1_11reduce_implILb1ES3_PfS7_fN6thrust23THRUST_200600_302600_NS4plusIfEEEE10hipError_tPvRmT1_T2_T3_mT4_P12ihipStream_tbEUlT_E0_NS1_11comp_targetILNS1_3genE5ELNS1_11target_archE942ELNS1_3gpuE9ELNS1_3repE0EEENS1_30default_config_static_selectorELNS0_4arch9wavefront6targetE1EEEvSF_.num_agpr, 0
	.set _ZN7rocprim17ROCPRIM_400000_NS6detail17trampoline_kernelINS0_14default_configENS1_22reduce_config_selectorIfEEZNS1_11reduce_implILb1ES3_PfS7_fN6thrust23THRUST_200600_302600_NS4plusIfEEEE10hipError_tPvRmT1_T2_T3_mT4_P12ihipStream_tbEUlT_E0_NS1_11comp_targetILNS1_3genE5ELNS1_11target_archE942ELNS1_3gpuE9ELNS1_3repE0EEENS1_30default_config_static_selectorELNS0_4arch9wavefront6targetE1EEEvSF_.numbered_sgpr, 0
	.set _ZN7rocprim17ROCPRIM_400000_NS6detail17trampoline_kernelINS0_14default_configENS1_22reduce_config_selectorIfEEZNS1_11reduce_implILb1ES3_PfS7_fN6thrust23THRUST_200600_302600_NS4plusIfEEEE10hipError_tPvRmT1_T2_T3_mT4_P12ihipStream_tbEUlT_E0_NS1_11comp_targetILNS1_3genE5ELNS1_11target_archE942ELNS1_3gpuE9ELNS1_3repE0EEENS1_30default_config_static_selectorELNS0_4arch9wavefront6targetE1EEEvSF_.num_named_barrier, 0
	.set _ZN7rocprim17ROCPRIM_400000_NS6detail17trampoline_kernelINS0_14default_configENS1_22reduce_config_selectorIfEEZNS1_11reduce_implILb1ES3_PfS7_fN6thrust23THRUST_200600_302600_NS4plusIfEEEE10hipError_tPvRmT1_T2_T3_mT4_P12ihipStream_tbEUlT_E0_NS1_11comp_targetILNS1_3genE5ELNS1_11target_archE942ELNS1_3gpuE9ELNS1_3repE0EEENS1_30default_config_static_selectorELNS0_4arch9wavefront6targetE1EEEvSF_.private_seg_size, 0
	.set _ZN7rocprim17ROCPRIM_400000_NS6detail17trampoline_kernelINS0_14default_configENS1_22reduce_config_selectorIfEEZNS1_11reduce_implILb1ES3_PfS7_fN6thrust23THRUST_200600_302600_NS4plusIfEEEE10hipError_tPvRmT1_T2_T3_mT4_P12ihipStream_tbEUlT_E0_NS1_11comp_targetILNS1_3genE5ELNS1_11target_archE942ELNS1_3gpuE9ELNS1_3repE0EEENS1_30default_config_static_selectorELNS0_4arch9wavefront6targetE1EEEvSF_.uses_vcc, 0
	.set _ZN7rocprim17ROCPRIM_400000_NS6detail17trampoline_kernelINS0_14default_configENS1_22reduce_config_selectorIfEEZNS1_11reduce_implILb1ES3_PfS7_fN6thrust23THRUST_200600_302600_NS4plusIfEEEE10hipError_tPvRmT1_T2_T3_mT4_P12ihipStream_tbEUlT_E0_NS1_11comp_targetILNS1_3genE5ELNS1_11target_archE942ELNS1_3gpuE9ELNS1_3repE0EEENS1_30default_config_static_selectorELNS0_4arch9wavefront6targetE1EEEvSF_.uses_flat_scratch, 0
	.set _ZN7rocprim17ROCPRIM_400000_NS6detail17trampoline_kernelINS0_14default_configENS1_22reduce_config_selectorIfEEZNS1_11reduce_implILb1ES3_PfS7_fN6thrust23THRUST_200600_302600_NS4plusIfEEEE10hipError_tPvRmT1_T2_T3_mT4_P12ihipStream_tbEUlT_E0_NS1_11comp_targetILNS1_3genE5ELNS1_11target_archE942ELNS1_3gpuE9ELNS1_3repE0EEENS1_30default_config_static_selectorELNS0_4arch9wavefront6targetE1EEEvSF_.has_dyn_sized_stack, 0
	.set _ZN7rocprim17ROCPRIM_400000_NS6detail17trampoline_kernelINS0_14default_configENS1_22reduce_config_selectorIfEEZNS1_11reduce_implILb1ES3_PfS7_fN6thrust23THRUST_200600_302600_NS4plusIfEEEE10hipError_tPvRmT1_T2_T3_mT4_P12ihipStream_tbEUlT_E0_NS1_11comp_targetILNS1_3genE5ELNS1_11target_archE942ELNS1_3gpuE9ELNS1_3repE0EEENS1_30default_config_static_selectorELNS0_4arch9wavefront6targetE1EEEvSF_.has_recursion, 0
	.set _ZN7rocprim17ROCPRIM_400000_NS6detail17trampoline_kernelINS0_14default_configENS1_22reduce_config_selectorIfEEZNS1_11reduce_implILb1ES3_PfS7_fN6thrust23THRUST_200600_302600_NS4plusIfEEEE10hipError_tPvRmT1_T2_T3_mT4_P12ihipStream_tbEUlT_E0_NS1_11comp_targetILNS1_3genE5ELNS1_11target_archE942ELNS1_3gpuE9ELNS1_3repE0EEENS1_30default_config_static_selectorELNS0_4arch9wavefront6targetE1EEEvSF_.has_indirect_call, 0
	.section	.AMDGPU.csdata,"",@progbits
; Kernel info:
; codeLenInByte = 0
; TotalNumSgprs: 4
; NumVgprs: 0
; ScratchSize: 0
; MemoryBound: 0
; FloatMode: 240
; IeeeMode: 1
; LDSByteSize: 0 bytes/workgroup (compile time only)
; SGPRBlocks: 0
; VGPRBlocks: 0
; NumSGPRsForWavesPerEU: 4
; NumVGPRsForWavesPerEU: 1
; Occupancy: 10
; WaveLimiterHint : 0
; COMPUTE_PGM_RSRC2:SCRATCH_EN: 0
; COMPUTE_PGM_RSRC2:USER_SGPR: 6
; COMPUTE_PGM_RSRC2:TRAP_HANDLER: 0
; COMPUTE_PGM_RSRC2:TGID_X_EN: 1
; COMPUTE_PGM_RSRC2:TGID_Y_EN: 0
; COMPUTE_PGM_RSRC2:TGID_Z_EN: 0
; COMPUTE_PGM_RSRC2:TIDIG_COMP_CNT: 0
	.section	.text._ZN7rocprim17ROCPRIM_400000_NS6detail17trampoline_kernelINS0_14default_configENS1_22reduce_config_selectorIfEEZNS1_11reduce_implILb1ES3_PfS7_fN6thrust23THRUST_200600_302600_NS4plusIfEEEE10hipError_tPvRmT1_T2_T3_mT4_P12ihipStream_tbEUlT_E0_NS1_11comp_targetILNS1_3genE4ELNS1_11target_archE910ELNS1_3gpuE8ELNS1_3repE0EEENS1_30default_config_static_selectorELNS0_4arch9wavefront6targetE1EEEvSF_,"axG",@progbits,_ZN7rocprim17ROCPRIM_400000_NS6detail17trampoline_kernelINS0_14default_configENS1_22reduce_config_selectorIfEEZNS1_11reduce_implILb1ES3_PfS7_fN6thrust23THRUST_200600_302600_NS4plusIfEEEE10hipError_tPvRmT1_T2_T3_mT4_P12ihipStream_tbEUlT_E0_NS1_11comp_targetILNS1_3genE4ELNS1_11target_archE910ELNS1_3gpuE8ELNS1_3repE0EEENS1_30default_config_static_selectorELNS0_4arch9wavefront6targetE1EEEvSF_,comdat
	.protected	_ZN7rocprim17ROCPRIM_400000_NS6detail17trampoline_kernelINS0_14default_configENS1_22reduce_config_selectorIfEEZNS1_11reduce_implILb1ES3_PfS7_fN6thrust23THRUST_200600_302600_NS4plusIfEEEE10hipError_tPvRmT1_T2_T3_mT4_P12ihipStream_tbEUlT_E0_NS1_11comp_targetILNS1_3genE4ELNS1_11target_archE910ELNS1_3gpuE8ELNS1_3repE0EEENS1_30default_config_static_selectorELNS0_4arch9wavefront6targetE1EEEvSF_ ; -- Begin function _ZN7rocprim17ROCPRIM_400000_NS6detail17trampoline_kernelINS0_14default_configENS1_22reduce_config_selectorIfEEZNS1_11reduce_implILb1ES3_PfS7_fN6thrust23THRUST_200600_302600_NS4plusIfEEEE10hipError_tPvRmT1_T2_T3_mT4_P12ihipStream_tbEUlT_E0_NS1_11comp_targetILNS1_3genE4ELNS1_11target_archE910ELNS1_3gpuE8ELNS1_3repE0EEENS1_30default_config_static_selectorELNS0_4arch9wavefront6targetE1EEEvSF_
	.globl	_ZN7rocprim17ROCPRIM_400000_NS6detail17trampoline_kernelINS0_14default_configENS1_22reduce_config_selectorIfEEZNS1_11reduce_implILb1ES3_PfS7_fN6thrust23THRUST_200600_302600_NS4plusIfEEEE10hipError_tPvRmT1_T2_T3_mT4_P12ihipStream_tbEUlT_E0_NS1_11comp_targetILNS1_3genE4ELNS1_11target_archE910ELNS1_3gpuE8ELNS1_3repE0EEENS1_30default_config_static_selectorELNS0_4arch9wavefront6targetE1EEEvSF_
	.p2align	8
	.type	_ZN7rocprim17ROCPRIM_400000_NS6detail17trampoline_kernelINS0_14default_configENS1_22reduce_config_selectorIfEEZNS1_11reduce_implILb1ES3_PfS7_fN6thrust23THRUST_200600_302600_NS4plusIfEEEE10hipError_tPvRmT1_T2_T3_mT4_P12ihipStream_tbEUlT_E0_NS1_11comp_targetILNS1_3genE4ELNS1_11target_archE910ELNS1_3gpuE8ELNS1_3repE0EEENS1_30default_config_static_selectorELNS0_4arch9wavefront6targetE1EEEvSF_,@function
_ZN7rocprim17ROCPRIM_400000_NS6detail17trampoline_kernelINS0_14default_configENS1_22reduce_config_selectorIfEEZNS1_11reduce_implILb1ES3_PfS7_fN6thrust23THRUST_200600_302600_NS4plusIfEEEE10hipError_tPvRmT1_T2_T3_mT4_P12ihipStream_tbEUlT_E0_NS1_11comp_targetILNS1_3genE4ELNS1_11target_archE910ELNS1_3gpuE8ELNS1_3repE0EEENS1_30default_config_static_selectorELNS0_4arch9wavefront6targetE1EEEvSF_: ; @_ZN7rocprim17ROCPRIM_400000_NS6detail17trampoline_kernelINS0_14default_configENS1_22reduce_config_selectorIfEEZNS1_11reduce_implILb1ES3_PfS7_fN6thrust23THRUST_200600_302600_NS4plusIfEEEE10hipError_tPvRmT1_T2_T3_mT4_P12ihipStream_tbEUlT_E0_NS1_11comp_targetILNS1_3genE4ELNS1_11target_archE910ELNS1_3gpuE8ELNS1_3repE0EEENS1_30default_config_static_selectorELNS0_4arch9wavefront6targetE1EEEvSF_
; %bb.0:
	.section	.rodata,"a",@progbits
	.p2align	6, 0x0
	.amdhsa_kernel _ZN7rocprim17ROCPRIM_400000_NS6detail17trampoline_kernelINS0_14default_configENS1_22reduce_config_selectorIfEEZNS1_11reduce_implILb1ES3_PfS7_fN6thrust23THRUST_200600_302600_NS4plusIfEEEE10hipError_tPvRmT1_T2_T3_mT4_P12ihipStream_tbEUlT_E0_NS1_11comp_targetILNS1_3genE4ELNS1_11target_archE910ELNS1_3gpuE8ELNS1_3repE0EEENS1_30default_config_static_selectorELNS0_4arch9wavefront6targetE1EEEvSF_
		.amdhsa_group_segment_fixed_size 0
		.amdhsa_private_segment_fixed_size 0
		.amdhsa_kernarg_size 56
		.amdhsa_user_sgpr_count 6
		.amdhsa_user_sgpr_private_segment_buffer 1
		.amdhsa_user_sgpr_dispatch_ptr 0
		.amdhsa_user_sgpr_queue_ptr 0
		.amdhsa_user_sgpr_kernarg_segment_ptr 1
		.amdhsa_user_sgpr_dispatch_id 0
		.amdhsa_user_sgpr_flat_scratch_init 0
		.amdhsa_user_sgpr_private_segment_size 0
		.amdhsa_uses_dynamic_stack 0
		.amdhsa_system_sgpr_private_segment_wavefront_offset 0
		.amdhsa_system_sgpr_workgroup_id_x 1
		.amdhsa_system_sgpr_workgroup_id_y 0
		.amdhsa_system_sgpr_workgroup_id_z 0
		.amdhsa_system_sgpr_workgroup_info 0
		.amdhsa_system_vgpr_workitem_id 0
		.amdhsa_next_free_vgpr 1
		.amdhsa_next_free_sgpr 0
		.amdhsa_reserve_vcc 0
		.amdhsa_reserve_flat_scratch 0
		.amdhsa_float_round_mode_32 0
		.amdhsa_float_round_mode_16_64 0
		.amdhsa_float_denorm_mode_32 3
		.amdhsa_float_denorm_mode_16_64 3
		.amdhsa_dx10_clamp 1
		.amdhsa_ieee_mode 1
		.amdhsa_fp16_overflow 0
		.amdhsa_exception_fp_ieee_invalid_op 0
		.amdhsa_exception_fp_denorm_src 0
		.amdhsa_exception_fp_ieee_div_zero 0
		.amdhsa_exception_fp_ieee_overflow 0
		.amdhsa_exception_fp_ieee_underflow 0
		.amdhsa_exception_fp_ieee_inexact 0
		.amdhsa_exception_int_div_zero 0
	.end_amdhsa_kernel
	.section	.text._ZN7rocprim17ROCPRIM_400000_NS6detail17trampoline_kernelINS0_14default_configENS1_22reduce_config_selectorIfEEZNS1_11reduce_implILb1ES3_PfS7_fN6thrust23THRUST_200600_302600_NS4plusIfEEEE10hipError_tPvRmT1_T2_T3_mT4_P12ihipStream_tbEUlT_E0_NS1_11comp_targetILNS1_3genE4ELNS1_11target_archE910ELNS1_3gpuE8ELNS1_3repE0EEENS1_30default_config_static_selectorELNS0_4arch9wavefront6targetE1EEEvSF_,"axG",@progbits,_ZN7rocprim17ROCPRIM_400000_NS6detail17trampoline_kernelINS0_14default_configENS1_22reduce_config_selectorIfEEZNS1_11reduce_implILb1ES3_PfS7_fN6thrust23THRUST_200600_302600_NS4plusIfEEEE10hipError_tPvRmT1_T2_T3_mT4_P12ihipStream_tbEUlT_E0_NS1_11comp_targetILNS1_3genE4ELNS1_11target_archE910ELNS1_3gpuE8ELNS1_3repE0EEENS1_30default_config_static_selectorELNS0_4arch9wavefront6targetE1EEEvSF_,comdat
.Lfunc_end2:
	.size	_ZN7rocprim17ROCPRIM_400000_NS6detail17trampoline_kernelINS0_14default_configENS1_22reduce_config_selectorIfEEZNS1_11reduce_implILb1ES3_PfS7_fN6thrust23THRUST_200600_302600_NS4plusIfEEEE10hipError_tPvRmT1_T2_T3_mT4_P12ihipStream_tbEUlT_E0_NS1_11comp_targetILNS1_3genE4ELNS1_11target_archE910ELNS1_3gpuE8ELNS1_3repE0EEENS1_30default_config_static_selectorELNS0_4arch9wavefront6targetE1EEEvSF_, .Lfunc_end2-_ZN7rocprim17ROCPRIM_400000_NS6detail17trampoline_kernelINS0_14default_configENS1_22reduce_config_selectorIfEEZNS1_11reduce_implILb1ES3_PfS7_fN6thrust23THRUST_200600_302600_NS4plusIfEEEE10hipError_tPvRmT1_T2_T3_mT4_P12ihipStream_tbEUlT_E0_NS1_11comp_targetILNS1_3genE4ELNS1_11target_archE910ELNS1_3gpuE8ELNS1_3repE0EEENS1_30default_config_static_selectorELNS0_4arch9wavefront6targetE1EEEvSF_
                                        ; -- End function
	.set _ZN7rocprim17ROCPRIM_400000_NS6detail17trampoline_kernelINS0_14default_configENS1_22reduce_config_selectorIfEEZNS1_11reduce_implILb1ES3_PfS7_fN6thrust23THRUST_200600_302600_NS4plusIfEEEE10hipError_tPvRmT1_T2_T3_mT4_P12ihipStream_tbEUlT_E0_NS1_11comp_targetILNS1_3genE4ELNS1_11target_archE910ELNS1_3gpuE8ELNS1_3repE0EEENS1_30default_config_static_selectorELNS0_4arch9wavefront6targetE1EEEvSF_.num_vgpr, 0
	.set _ZN7rocprim17ROCPRIM_400000_NS6detail17trampoline_kernelINS0_14default_configENS1_22reduce_config_selectorIfEEZNS1_11reduce_implILb1ES3_PfS7_fN6thrust23THRUST_200600_302600_NS4plusIfEEEE10hipError_tPvRmT1_T2_T3_mT4_P12ihipStream_tbEUlT_E0_NS1_11comp_targetILNS1_3genE4ELNS1_11target_archE910ELNS1_3gpuE8ELNS1_3repE0EEENS1_30default_config_static_selectorELNS0_4arch9wavefront6targetE1EEEvSF_.num_agpr, 0
	.set _ZN7rocprim17ROCPRIM_400000_NS6detail17trampoline_kernelINS0_14default_configENS1_22reduce_config_selectorIfEEZNS1_11reduce_implILb1ES3_PfS7_fN6thrust23THRUST_200600_302600_NS4plusIfEEEE10hipError_tPvRmT1_T2_T3_mT4_P12ihipStream_tbEUlT_E0_NS1_11comp_targetILNS1_3genE4ELNS1_11target_archE910ELNS1_3gpuE8ELNS1_3repE0EEENS1_30default_config_static_selectorELNS0_4arch9wavefront6targetE1EEEvSF_.numbered_sgpr, 0
	.set _ZN7rocprim17ROCPRIM_400000_NS6detail17trampoline_kernelINS0_14default_configENS1_22reduce_config_selectorIfEEZNS1_11reduce_implILb1ES3_PfS7_fN6thrust23THRUST_200600_302600_NS4plusIfEEEE10hipError_tPvRmT1_T2_T3_mT4_P12ihipStream_tbEUlT_E0_NS1_11comp_targetILNS1_3genE4ELNS1_11target_archE910ELNS1_3gpuE8ELNS1_3repE0EEENS1_30default_config_static_selectorELNS0_4arch9wavefront6targetE1EEEvSF_.num_named_barrier, 0
	.set _ZN7rocprim17ROCPRIM_400000_NS6detail17trampoline_kernelINS0_14default_configENS1_22reduce_config_selectorIfEEZNS1_11reduce_implILb1ES3_PfS7_fN6thrust23THRUST_200600_302600_NS4plusIfEEEE10hipError_tPvRmT1_T2_T3_mT4_P12ihipStream_tbEUlT_E0_NS1_11comp_targetILNS1_3genE4ELNS1_11target_archE910ELNS1_3gpuE8ELNS1_3repE0EEENS1_30default_config_static_selectorELNS0_4arch9wavefront6targetE1EEEvSF_.private_seg_size, 0
	.set _ZN7rocprim17ROCPRIM_400000_NS6detail17trampoline_kernelINS0_14default_configENS1_22reduce_config_selectorIfEEZNS1_11reduce_implILb1ES3_PfS7_fN6thrust23THRUST_200600_302600_NS4plusIfEEEE10hipError_tPvRmT1_T2_T3_mT4_P12ihipStream_tbEUlT_E0_NS1_11comp_targetILNS1_3genE4ELNS1_11target_archE910ELNS1_3gpuE8ELNS1_3repE0EEENS1_30default_config_static_selectorELNS0_4arch9wavefront6targetE1EEEvSF_.uses_vcc, 0
	.set _ZN7rocprim17ROCPRIM_400000_NS6detail17trampoline_kernelINS0_14default_configENS1_22reduce_config_selectorIfEEZNS1_11reduce_implILb1ES3_PfS7_fN6thrust23THRUST_200600_302600_NS4plusIfEEEE10hipError_tPvRmT1_T2_T3_mT4_P12ihipStream_tbEUlT_E0_NS1_11comp_targetILNS1_3genE4ELNS1_11target_archE910ELNS1_3gpuE8ELNS1_3repE0EEENS1_30default_config_static_selectorELNS0_4arch9wavefront6targetE1EEEvSF_.uses_flat_scratch, 0
	.set _ZN7rocprim17ROCPRIM_400000_NS6detail17trampoline_kernelINS0_14default_configENS1_22reduce_config_selectorIfEEZNS1_11reduce_implILb1ES3_PfS7_fN6thrust23THRUST_200600_302600_NS4plusIfEEEE10hipError_tPvRmT1_T2_T3_mT4_P12ihipStream_tbEUlT_E0_NS1_11comp_targetILNS1_3genE4ELNS1_11target_archE910ELNS1_3gpuE8ELNS1_3repE0EEENS1_30default_config_static_selectorELNS0_4arch9wavefront6targetE1EEEvSF_.has_dyn_sized_stack, 0
	.set _ZN7rocprim17ROCPRIM_400000_NS6detail17trampoline_kernelINS0_14default_configENS1_22reduce_config_selectorIfEEZNS1_11reduce_implILb1ES3_PfS7_fN6thrust23THRUST_200600_302600_NS4plusIfEEEE10hipError_tPvRmT1_T2_T3_mT4_P12ihipStream_tbEUlT_E0_NS1_11comp_targetILNS1_3genE4ELNS1_11target_archE910ELNS1_3gpuE8ELNS1_3repE0EEENS1_30default_config_static_selectorELNS0_4arch9wavefront6targetE1EEEvSF_.has_recursion, 0
	.set _ZN7rocprim17ROCPRIM_400000_NS6detail17trampoline_kernelINS0_14default_configENS1_22reduce_config_selectorIfEEZNS1_11reduce_implILb1ES3_PfS7_fN6thrust23THRUST_200600_302600_NS4plusIfEEEE10hipError_tPvRmT1_T2_T3_mT4_P12ihipStream_tbEUlT_E0_NS1_11comp_targetILNS1_3genE4ELNS1_11target_archE910ELNS1_3gpuE8ELNS1_3repE0EEENS1_30default_config_static_selectorELNS0_4arch9wavefront6targetE1EEEvSF_.has_indirect_call, 0
	.section	.AMDGPU.csdata,"",@progbits
; Kernel info:
; codeLenInByte = 0
; TotalNumSgprs: 4
; NumVgprs: 0
; ScratchSize: 0
; MemoryBound: 0
; FloatMode: 240
; IeeeMode: 1
; LDSByteSize: 0 bytes/workgroup (compile time only)
; SGPRBlocks: 0
; VGPRBlocks: 0
; NumSGPRsForWavesPerEU: 4
; NumVGPRsForWavesPerEU: 1
; Occupancy: 10
; WaveLimiterHint : 0
; COMPUTE_PGM_RSRC2:SCRATCH_EN: 0
; COMPUTE_PGM_RSRC2:USER_SGPR: 6
; COMPUTE_PGM_RSRC2:TRAP_HANDLER: 0
; COMPUTE_PGM_RSRC2:TGID_X_EN: 1
; COMPUTE_PGM_RSRC2:TGID_Y_EN: 0
; COMPUTE_PGM_RSRC2:TGID_Z_EN: 0
; COMPUTE_PGM_RSRC2:TIDIG_COMP_CNT: 0
	.section	.text._ZN7rocprim17ROCPRIM_400000_NS6detail17trampoline_kernelINS0_14default_configENS1_22reduce_config_selectorIfEEZNS1_11reduce_implILb1ES3_PfS7_fN6thrust23THRUST_200600_302600_NS4plusIfEEEE10hipError_tPvRmT1_T2_T3_mT4_P12ihipStream_tbEUlT_E0_NS1_11comp_targetILNS1_3genE3ELNS1_11target_archE908ELNS1_3gpuE7ELNS1_3repE0EEENS1_30default_config_static_selectorELNS0_4arch9wavefront6targetE1EEEvSF_,"axG",@progbits,_ZN7rocprim17ROCPRIM_400000_NS6detail17trampoline_kernelINS0_14default_configENS1_22reduce_config_selectorIfEEZNS1_11reduce_implILb1ES3_PfS7_fN6thrust23THRUST_200600_302600_NS4plusIfEEEE10hipError_tPvRmT1_T2_T3_mT4_P12ihipStream_tbEUlT_E0_NS1_11comp_targetILNS1_3genE3ELNS1_11target_archE908ELNS1_3gpuE7ELNS1_3repE0EEENS1_30default_config_static_selectorELNS0_4arch9wavefront6targetE1EEEvSF_,comdat
	.protected	_ZN7rocprim17ROCPRIM_400000_NS6detail17trampoline_kernelINS0_14default_configENS1_22reduce_config_selectorIfEEZNS1_11reduce_implILb1ES3_PfS7_fN6thrust23THRUST_200600_302600_NS4plusIfEEEE10hipError_tPvRmT1_T2_T3_mT4_P12ihipStream_tbEUlT_E0_NS1_11comp_targetILNS1_3genE3ELNS1_11target_archE908ELNS1_3gpuE7ELNS1_3repE0EEENS1_30default_config_static_selectorELNS0_4arch9wavefront6targetE1EEEvSF_ ; -- Begin function _ZN7rocprim17ROCPRIM_400000_NS6detail17trampoline_kernelINS0_14default_configENS1_22reduce_config_selectorIfEEZNS1_11reduce_implILb1ES3_PfS7_fN6thrust23THRUST_200600_302600_NS4plusIfEEEE10hipError_tPvRmT1_T2_T3_mT4_P12ihipStream_tbEUlT_E0_NS1_11comp_targetILNS1_3genE3ELNS1_11target_archE908ELNS1_3gpuE7ELNS1_3repE0EEENS1_30default_config_static_selectorELNS0_4arch9wavefront6targetE1EEEvSF_
	.globl	_ZN7rocprim17ROCPRIM_400000_NS6detail17trampoline_kernelINS0_14default_configENS1_22reduce_config_selectorIfEEZNS1_11reduce_implILb1ES3_PfS7_fN6thrust23THRUST_200600_302600_NS4plusIfEEEE10hipError_tPvRmT1_T2_T3_mT4_P12ihipStream_tbEUlT_E0_NS1_11comp_targetILNS1_3genE3ELNS1_11target_archE908ELNS1_3gpuE7ELNS1_3repE0EEENS1_30default_config_static_selectorELNS0_4arch9wavefront6targetE1EEEvSF_
	.p2align	8
	.type	_ZN7rocprim17ROCPRIM_400000_NS6detail17trampoline_kernelINS0_14default_configENS1_22reduce_config_selectorIfEEZNS1_11reduce_implILb1ES3_PfS7_fN6thrust23THRUST_200600_302600_NS4plusIfEEEE10hipError_tPvRmT1_T2_T3_mT4_P12ihipStream_tbEUlT_E0_NS1_11comp_targetILNS1_3genE3ELNS1_11target_archE908ELNS1_3gpuE7ELNS1_3repE0EEENS1_30default_config_static_selectorELNS0_4arch9wavefront6targetE1EEEvSF_,@function
_ZN7rocprim17ROCPRIM_400000_NS6detail17trampoline_kernelINS0_14default_configENS1_22reduce_config_selectorIfEEZNS1_11reduce_implILb1ES3_PfS7_fN6thrust23THRUST_200600_302600_NS4plusIfEEEE10hipError_tPvRmT1_T2_T3_mT4_P12ihipStream_tbEUlT_E0_NS1_11comp_targetILNS1_3genE3ELNS1_11target_archE908ELNS1_3gpuE7ELNS1_3repE0EEENS1_30default_config_static_selectorELNS0_4arch9wavefront6targetE1EEEvSF_: ; @_ZN7rocprim17ROCPRIM_400000_NS6detail17trampoline_kernelINS0_14default_configENS1_22reduce_config_selectorIfEEZNS1_11reduce_implILb1ES3_PfS7_fN6thrust23THRUST_200600_302600_NS4plusIfEEEE10hipError_tPvRmT1_T2_T3_mT4_P12ihipStream_tbEUlT_E0_NS1_11comp_targetILNS1_3genE3ELNS1_11target_archE908ELNS1_3gpuE7ELNS1_3repE0EEENS1_30default_config_static_selectorELNS0_4arch9wavefront6targetE1EEEvSF_
; %bb.0:
	.section	.rodata,"a",@progbits
	.p2align	6, 0x0
	.amdhsa_kernel _ZN7rocprim17ROCPRIM_400000_NS6detail17trampoline_kernelINS0_14default_configENS1_22reduce_config_selectorIfEEZNS1_11reduce_implILb1ES3_PfS7_fN6thrust23THRUST_200600_302600_NS4plusIfEEEE10hipError_tPvRmT1_T2_T3_mT4_P12ihipStream_tbEUlT_E0_NS1_11comp_targetILNS1_3genE3ELNS1_11target_archE908ELNS1_3gpuE7ELNS1_3repE0EEENS1_30default_config_static_selectorELNS0_4arch9wavefront6targetE1EEEvSF_
		.amdhsa_group_segment_fixed_size 0
		.amdhsa_private_segment_fixed_size 0
		.amdhsa_kernarg_size 56
		.amdhsa_user_sgpr_count 6
		.amdhsa_user_sgpr_private_segment_buffer 1
		.amdhsa_user_sgpr_dispatch_ptr 0
		.amdhsa_user_sgpr_queue_ptr 0
		.amdhsa_user_sgpr_kernarg_segment_ptr 1
		.amdhsa_user_sgpr_dispatch_id 0
		.amdhsa_user_sgpr_flat_scratch_init 0
		.amdhsa_user_sgpr_private_segment_size 0
		.amdhsa_uses_dynamic_stack 0
		.amdhsa_system_sgpr_private_segment_wavefront_offset 0
		.amdhsa_system_sgpr_workgroup_id_x 1
		.amdhsa_system_sgpr_workgroup_id_y 0
		.amdhsa_system_sgpr_workgroup_id_z 0
		.amdhsa_system_sgpr_workgroup_info 0
		.amdhsa_system_vgpr_workitem_id 0
		.amdhsa_next_free_vgpr 1
		.amdhsa_next_free_sgpr 0
		.amdhsa_reserve_vcc 0
		.amdhsa_reserve_flat_scratch 0
		.amdhsa_float_round_mode_32 0
		.amdhsa_float_round_mode_16_64 0
		.amdhsa_float_denorm_mode_32 3
		.amdhsa_float_denorm_mode_16_64 3
		.amdhsa_dx10_clamp 1
		.amdhsa_ieee_mode 1
		.amdhsa_fp16_overflow 0
		.amdhsa_exception_fp_ieee_invalid_op 0
		.amdhsa_exception_fp_denorm_src 0
		.amdhsa_exception_fp_ieee_div_zero 0
		.amdhsa_exception_fp_ieee_overflow 0
		.amdhsa_exception_fp_ieee_underflow 0
		.amdhsa_exception_fp_ieee_inexact 0
		.amdhsa_exception_int_div_zero 0
	.end_amdhsa_kernel
	.section	.text._ZN7rocprim17ROCPRIM_400000_NS6detail17trampoline_kernelINS0_14default_configENS1_22reduce_config_selectorIfEEZNS1_11reduce_implILb1ES3_PfS7_fN6thrust23THRUST_200600_302600_NS4plusIfEEEE10hipError_tPvRmT1_T2_T3_mT4_P12ihipStream_tbEUlT_E0_NS1_11comp_targetILNS1_3genE3ELNS1_11target_archE908ELNS1_3gpuE7ELNS1_3repE0EEENS1_30default_config_static_selectorELNS0_4arch9wavefront6targetE1EEEvSF_,"axG",@progbits,_ZN7rocprim17ROCPRIM_400000_NS6detail17trampoline_kernelINS0_14default_configENS1_22reduce_config_selectorIfEEZNS1_11reduce_implILb1ES3_PfS7_fN6thrust23THRUST_200600_302600_NS4plusIfEEEE10hipError_tPvRmT1_T2_T3_mT4_P12ihipStream_tbEUlT_E0_NS1_11comp_targetILNS1_3genE3ELNS1_11target_archE908ELNS1_3gpuE7ELNS1_3repE0EEENS1_30default_config_static_selectorELNS0_4arch9wavefront6targetE1EEEvSF_,comdat
.Lfunc_end3:
	.size	_ZN7rocprim17ROCPRIM_400000_NS6detail17trampoline_kernelINS0_14default_configENS1_22reduce_config_selectorIfEEZNS1_11reduce_implILb1ES3_PfS7_fN6thrust23THRUST_200600_302600_NS4plusIfEEEE10hipError_tPvRmT1_T2_T3_mT4_P12ihipStream_tbEUlT_E0_NS1_11comp_targetILNS1_3genE3ELNS1_11target_archE908ELNS1_3gpuE7ELNS1_3repE0EEENS1_30default_config_static_selectorELNS0_4arch9wavefront6targetE1EEEvSF_, .Lfunc_end3-_ZN7rocprim17ROCPRIM_400000_NS6detail17trampoline_kernelINS0_14default_configENS1_22reduce_config_selectorIfEEZNS1_11reduce_implILb1ES3_PfS7_fN6thrust23THRUST_200600_302600_NS4plusIfEEEE10hipError_tPvRmT1_T2_T3_mT4_P12ihipStream_tbEUlT_E0_NS1_11comp_targetILNS1_3genE3ELNS1_11target_archE908ELNS1_3gpuE7ELNS1_3repE0EEENS1_30default_config_static_selectorELNS0_4arch9wavefront6targetE1EEEvSF_
                                        ; -- End function
	.set _ZN7rocprim17ROCPRIM_400000_NS6detail17trampoline_kernelINS0_14default_configENS1_22reduce_config_selectorIfEEZNS1_11reduce_implILb1ES3_PfS7_fN6thrust23THRUST_200600_302600_NS4plusIfEEEE10hipError_tPvRmT1_T2_T3_mT4_P12ihipStream_tbEUlT_E0_NS1_11comp_targetILNS1_3genE3ELNS1_11target_archE908ELNS1_3gpuE7ELNS1_3repE0EEENS1_30default_config_static_selectorELNS0_4arch9wavefront6targetE1EEEvSF_.num_vgpr, 0
	.set _ZN7rocprim17ROCPRIM_400000_NS6detail17trampoline_kernelINS0_14default_configENS1_22reduce_config_selectorIfEEZNS1_11reduce_implILb1ES3_PfS7_fN6thrust23THRUST_200600_302600_NS4plusIfEEEE10hipError_tPvRmT1_T2_T3_mT4_P12ihipStream_tbEUlT_E0_NS1_11comp_targetILNS1_3genE3ELNS1_11target_archE908ELNS1_3gpuE7ELNS1_3repE0EEENS1_30default_config_static_selectorELNS0_4arch9wavefront6targetE1EEEvSF_.num_agpr, 0
	.set _ZN7rocprim17ROCPRIM_400000_NS6detail17trampoline_kernelINS0_14default_configENS1_22reduce_config_selectorIfEEZNS1_11reduce_implILb1ES3_PfS7_fN6thrust23THRUST_200600_302600_NS4plusIfEEEE10hipError_tPvRmT1_T2_T3_mT4_P12ihipStream_tbEUlT_E0_NS1_11comp_targetILNS1_3genE3ELNS1_11target_archE908ELNS1_3gpuE7ELNS1_3repE0EEENS1_30default_config_static_selectorELNS0_4arch9wavefront6targetE1EEEvSF_.numbered_sgpr, 0
	.set _ZN7rocprim17ROCPRIM_400000_NS6detail17trampoline_kernelINS0_14default_configENS1_22reduce_config_selectorIfEEZNS1_11reduce_implILb1ES3_PfS7_fN6thrust23THRUST_200600_302600_NS4plusIfEEEE10hipError_tPvRmT1_T2_T3_mT4_P12ihipStream_tbEUlT_E0_NS1_11comp_targetILNS1_3genE3ELNS1_11target_archE908ELNS1_3gpuE7ELNS1_3repE0EEENS1_30default_config_static_selectorELNS0_4arch9wavefront6targetE1EEEvSF_.num_named_barrier, 0
	.set _ZN7rocprim17ROCPRIM_400000_NS6detail17trampoline_kernelINS0_14default_configENS1_22reduce_config_selectorIfEEZNS1_11reduce_implILb1ES3_PfS7_fN6thrust23THRUST_200600_302600_NS4plusIfEEEE10hipError_tPvRmT1_T2_T3_mT4_P12ihipStream_tbEUlT_E0_NS1_11comp_targetILNS1_3genE3ELNS1_11target_archE908ELNS1_3gpuE7ELNS1_3repE0EEENS1_30default_config_static_selectorELNS0_4arch9wavefront6targetE1EEEvSF_.private_seg_size, 0
	.set _ZN7rocprim17ROCPRIM_400000_NS6detail17trampoline_kernelINS0_14default_configENS1_22reduce_config_selectorIfEEZNS1_11reduce_implILb1ES3_PfS7_fN6thrust23THRUST_200600_302600_NS4plusIfEEEE10hipError_tPvRmT1_T2_T3_mT4_P12ihipStream_tbEUlT_E0_NS1_11comp_targetILNS1_3genE3ELNS1_11target_archE908ELNS1_3gpuE7ELNS1_3repE0EEENS1_30default_config_static_selectorELNS0_4arch9wavefront6targetE1EEEvSF_.uses_vcc, 0
	.set _ZN7rocprim17ROCPRIM_400000_NS6detail17trampoline_kernelINS0_14default_configENS1_22reduce_config_selectorIfEEZNS1_11reduce_implILb1ES3_PfS7_fN6thrust23THRUST_200600_302600_NS4plusIfEEEE10hipError_tPvRmT1_T2_T3_mT4_P12ihipStream_tbEUlT_E0_NS1_11comp_targetILNS1_3genE3ELNS1_11target_archE908ELNS1_3gpuE7ELNS1_3repE0EEENS1_30default_config_static_selectorELNS0_4arch9wavefront6targetE1EEEvSF_.uses_flat_scratch, 0
	.set _ZN7rocprim17ROCPRIM_400000_NS6detail17trampoline_kernelINS0_14default_configENS1_22reduce_config_selectorIfEEZNS1_11reduce_implILb1ES3_PfS7_fN6thrust23THRUST_200600_302600_NS4plusIfEEEE10hipError_tPvRmT1_T2_T3_mT4_P12ihipStream_tbEUlT_E0_NS1_11comp_targetILNS1_3genE3ELNS1_11target_archE908ELNS1_3gpuE7ELNS1_3repE0EEENS1_30default_config_static_selectorELNS0_4arch9wavefront6targetE1EEEvSF_.has_dyn_sized_stack, 0
	.set _ZN7rocprim17ROCPRIM_400000_NS6detail17trampoline_kernelINS0_14default_configENS1_22reduce_config_selectorIfEEZNS1_11reduce_implILb1ES3_PfS7_fN6thrust23THRUST_200600_302600_NS4plusIfEEEE10hipError_tPvRmT1_T2_T3_mT4_P12ihipStream_tbEUlT_E0_NS1_11comp_targetILNS1_3genE3ELNS1_11target_archE908ELNS1_3gpuE7ELNS1_3repE0EEENS1_30default_config_static_selectorELNS0_4arch9wavefront6targetE1EEEvSF_.has_recursion, 0
	.set _ZN7rocprim17ROCPRIM_400000_NS6detail17trampoline_kernelINS0_14default_configENS1_22reduce_config_selectorIfEEZNS1_11reduce_implILb1ES3_PfS7_fN6thrust23THRUST_200600_302600_NS4plusIfEEEE10hipError_tPvRmT1_T2_T3_mT4_P12ihipStream_tbEUlT_E0_NS1_11comp_targetILNS1_3genE3ELNS1_11target_archE908ELNS1_3gpuE7ELNS1_3repE0EEENS1_30default_config_static_selectorELNS0_4arch9wavefront6targetE1EEEvSF_.has_indirect_call, 0
	.section	.AMDGPU.csdata,"",@progbits
; Kernel info:
; codeLenInByte = 0
; TotalNumSgprs: 4
; NumVgprs: 0
; ScratchSize: 0
; MemoryBound: 0
; FloatMode: 240
; IeeeMode: 1
; LDSByteSize: 0 bytes/workgroup (compile time only)
; SGPRBlocks: 0
; VGPRBlocks: 0
; NumSGPRsForWavesPerEU: 4
; NumVGPRsForWavesPerEU: 1
; Occupancy: 10
; WaveLimiterHint : 0
; COMPUTE_PGM_RSRC2:SCRATCH_EN: 0
; COMPUTE_PGM_RSRC2:USER_SGPR: 6
; COMPUTE_PGM_RSRC2:TRAP_HANDLER: 0
; COMPUTE_PGM_RSRC2:TGID_X_EN: 1
; COMPUTE_PGM_RSRC2:TGID_Y_EN: 0
; COMPUTE_PGM_RSRC2:TGID_Z_EN: 0
; COMPUTE_PGM_RSRC2:TIDIG_COMP_CNT: 0
	.section	.text._ZN7rocprim17ROCPRIM_400000_NS6detail17trampoline_kernelINS0_14default_configENS1_22reduce_config_selectorIfEEZNS1_11reduce_implILb1ES3_PfS7_fN6thrust23THRUST_200600_302600_NS4plusIfEEEE10hipError_tPvRmT1_T2_T3_mT4_P12ihipStream_tbEUlT_E0_NS1_11comp_targetILNS1_3genE2ELNS1_11target_archE906ELNS1_3gpuE6ELNS1_3repE0EEENS1_30default_config_static_selectorELNS0_4arch9wavefront6targetE1EEEvSF_,"axG",@progbits,_ZN7rocprim17ROCPRIM_400000_NS6detail17trampoline_kernelINS0_14default_configENS1_22reduce_config_selectorIfEEZNS1_11reduce_implILb1ES3_PfS7_fN6thrust23THRUST_200600_302600_NS4plusIfEEEE10hipError_tPvRmT1_T2_T3_mT4_P12ihipStream_tbEUlT_E0_NS1_11comp_targetILNS1_3genE2ELNS1_11target_archE906ELNS1_3gpuE6ELNS1_3repE0EEENS1_30default_config_static_selectorELNS0_4arch9wavefront6targetE1EEEvSF_,comdat
	.protected	_ZN7rocprim17ROCPRIM_400000_NS6detail17trampoline_kernelINS0_14default_configENS1_22reduce_config_selectorIfEEZNS1_11reduce_implILb1ES3_PfS7_fN6thrust23THRUST_200600_302600_NS4plusIfEEEE10hipError_tPvRmT1_T2_T3_mT4_P12ihipStream_tbEUlT_E0_NS1_11comp_targetILNS1_3genE2ELNS1_11target_archE906ELNS1_3gpuE6ELNS1_3repE0EEENS1_30default_config_static_selectorELNS0_4arch9wavefront6targetE1EEEvSF_ ; -- Begin function _ZN7rocprim17ROCPRIM_400000_NS6detail17trampoline_kernelINS0_14default_configENS1_22reduce_config_selectorIfEEZNS1_11reduce_implILb1ES3_PfS7_fN6thrust23THRUST_200600_302600_NS4plusIfEEEE10hipError_tPvRmT1_T2_T3_mT4_P12ihipStream_tbEUlT_E0_NS1_11comp_targetILNS1_3genE2ELNS1_11target_archE906ELNS1_3gpuE6ELNS1_3repE0EEENS1_30default_config_static_selectorELNS0_4arch9wavefront6targetE1EEEvSF_
	.globl	_ZN7rocprim17ROCPRIM_400000_NS6detail17trampoline_kernelINS0_14default_configENS1_22reduce_config_selectorIfEEZNS1_11reduce_implILb1ES3_PfS7_fN6thrust23THRUST_200600_302600_NS4plusIfEEEE10hipError_tPvRmT1_T2_T3_mT4_P12ihipStream_tbEUlT_E0_NS1_11comp_targetILNS1_3genE2ELNS1_11target_archE906ELNS1_3gpuE6ELNS1_3repE0EEENS1_30default_config_static_selectorELNS0_4arch9wavefront6targetE1EEEvSF_
	.p2align	8
	.type	_ZN7rocprim17ROCPRIM_400000_NS6detail17trampoline_kernelINS0_14default_configENS1_22reduce_config_selectorIfEEZNS1_11reduce_implILb1ES3_PfS7_fN6thrust23THRUST_200600_302600_NS4plusIfEEEE10hipError_tPvRmT1_T2_T3_mT4_P12ihipStream_tbEUlT_E0_NS1_11comp_targetILNS1_3genE2ELNS1_11target_archE906ELNS1_3gpuE6ELNS1_3repE0EEENS1_30default_config_static_selectorELNS0_4arch9wavefront6targetE1EEEvSF_,@function
_ZN7rocprim17ROCPRIM_400000_NS6detail17trampoline_kernelINS0_14default_configENS1_22reduce_config_selectorIfEEZNS1_11reduce_implILb1ES3_PfS7_fN6thrust23THRUST_200600_302600_NS4plusIfEEEE10hipError_tPvRmT1_T2_T3_mT4_P12ihipStream_tbEUlT_E0_NS1_11comp_targetILNS1_3genE2ELNS1_11target_archE906ELNS1_3gpuE6ELNS1_3repE0EEENS1_30default_config_static_selectorELNS0_4arch9wavefront6targetE1EEEvSF_: ; @_ZN7rocprim17ROCPRIM_400000_NS6detail17trampoline_kernelINS0_14default_configENS1_22reduce_config_selectorIfEEZNS1_11reduce_implILb1ES3_PfS7_fN6thrust23THRUST_200600_302600_NS4plusIfEEEE10hipError_tPvRmT1_T2_T3_mT4_P12ihipStream_tbEUlT_E0_NS1_11comp_targetILNS1_3genE2ELNS1_11target_archE906ELNS1_3gpuE6ELNS1_3repE0EEENS1_30default_config_static_selectorELNS0_4arch9wavefront6targetE1EEEvSF_
; %bb.0:
	s_load_dwordx8 s[8:15], s[4:5], 0x0
	s_load_dwordx4 s[16:19], s[4:5], 0x20
	v_lshlrev_b32_e32 v6, 2, v0
	v_mbcnt_lo_u32_b32 v5, -1, 0
	s_waitcnt lgkmcnt(0)
	s_lshl_b64 s[0:1], s[10:11], 2
	s_add_u32 s10, s8, s0
	s_addc_u32 s11, s9, s1
	s_lshl_b32 s0, s6, 10
	s_mov_b32 s1, 0
	s_lshr_b64 s[2:3], s[12:13], 10
	s_lshl_b64 s[8:9], s[0:1], 2
	s_add_u32 s8, s10, s8
	s_mov_b32 s7, s1
	s_addc_u32 s9, s11, s9
	s_cmp_lg_u64 s[2:3], s[6:7]
	s_cbranch_scc0 .LBB4_6
; %bb.1:
	global_load_dword v1, v6, s[8:9]
	global_load_dword v4, v6, s[8:9] offset:1024
	global_load_dword v7, v6, s[8:9] offset:2048
	global_load_dword v8, v6, s[8:9] offset:3072
	v_mbcnt_hi_u32_b32 v2, -1, v5
	v_lshlrev_b32_e32 v3, 2, v2
	v_cmp_eq_u32_e32 vcc, 0, v2
	s_waitcnt vmcnt(2)
	v_add_f32_e32 v1, v1, v4
	s_waitcnt vmcnt(1)
	v_add_f32_e32 v1, v1, v7
	;; [unrolled: 2-line block ×3, first 2 shown]
	v_or_b32_e32 v4, 0xfc, v3
	s_nop 0
	v_add_f32_dpp v1, v1, v1 quad_perm:[1,0,3,2] row_mask:0xf bank_mask:0xf bound_ctrl:1
	s_nop 1
	v_add_f32_dpp v1, v1, v1 quad_perm:[2,3,0,1] row_mask:0xf bank_mask:0xf bound_ctrl:1
	s_nop 1
	v_add_f32_dpp v1, v1, v1 row_ror:4 row_mask:0xf bank_mask:0xf bound_ctrl:1
	s_nop 1
	v_add_f32_dpp v1, v1, v1 row_ror:8 row_mask:0xf bank_mask:0xf bound_ctrl:1
	s_nop 1
	v_add_f32_dpp v1, v1, v1 row_bcast:15 row_mask:0xf bank_mask:0xf bound_ctrl:1
	s_nop 1
	v_add_f32_dpp v1, v1, v1 row_bcast:31 row_mask:0xf bank_mask:0xf bound_ctrl:1
	ds_bpermute_b32 v1, v4, v1
	s_and_saveexec_b64 s[2:3], vcc
	s_cbranch_execz .LBB4_3
; %bb.2:
	v_lshrrev_b32_e32 v4, 4, v0
	v_and_b32_e32 v4, 12, v4
	s_waitcnt lgkmcnt(0)
	ds_write_b32 v4, v1
.LBB4_3:
	s_or_b64 exec, exec, s[2:3]
	v_cmp_gt_u32_e32 vcc, 64, v0
	s_waitcnt lgkmcnt(0)
	s_barrier
	s_and_saveexec_b64 s[2:3], vcc
	s_cbranch_execz .LBB4_5
; %bb.4:
	v_and_b32_e32 v1, 3, v2
	v_lshlrev_b32_e32 v4, 2, v1
	ds_read_b32 v4, v4
	v_cmp_ne_u32_e32 vcc, 3, v1
	v_addc_co_u32_e32 v1, vcc, 0, v2, vcc
	v_lshlrev_b32_e32 v1, 2, v1
	s_waitcnt lgkmcnt(0)
	ds_bpermute_b32 v1, v1, v4
	v_or_b32_e32 v2, 8, v3
	s_waitcnt lgkmcnt(0)
	v_add_f32_e32 v1, v4, v1
	ds_bpermute_b32 v2, v2, v1
	s_waitcnt lgkmcnt(0)
	v_add_f32_e32 v1, v1, v2
.LBB4_5:
	s_or_b64 exec, exec, s[2:3]
	s_load_dword s10, s[4:5], 0x30
	s_branch .LBB4_20
.LBB4_6:
                                        ; implicit-def: $vgpr1
	s_load_dword s10, s[4:5], 0x30
	s_cbranch_execz .LBB4_20
; %bb.7:
	s_sub_i32 s11, s12, s0
	v_mov_b32_e32 v1, 0
	v_cmp_gt_u32_e32 vcc, s11, v0
	v_mov_b32_e32 v2, v1
	v_mov_b32_e32 v3, v1
	v_mov_b32_e32 v4, v1
	s_and_saveexec_b64 s[0:1], vcc
	s_cbranch_execz .LBB4_9
; %bb.8:
	global_load_dword v7, v6, s[8:9]
	v_mov_b32_e32 v8, v1
	v_mov_b32_e32 v9, v1
	;; [unrolled: 1-line block ×3, first 2 shown]
	s_waitcnt vmcnt(0)
	v_mov_b32_e32 v1, v7
	v_mov_b32_e32 v2, v8
	;; [unrolled: 1-line block ×4, first 2 shown]
.LBB4_9:
	s_or_b64 exec, exec, s[0:1]
	v_or_b32_e32 v7, 0x100, v0
	v_cmp_gt_u32_e32 vcc, s11, v7
	s_and_saveexec_b64 s[0:1], vcc
	s_cbranch_execz .LBB4_11
; %bb.10:
	global_load_dword v2, v6, s[8:9] offset:1024
.LBB4_11:
	s_or_b64 exec, exec, s[0:1]
	v_or_b32_e32 v7, 0x200, v0
	v_cmp_gt_u32_e64 s[0:1], s11, v7
	s_and_saveexec_b64 s[2:3], s[0:1]
	s_cbranch_execz .LBB4_13
; %bb.12:
	global_load_dword v3, v6, s[8:9] offset:2048
.LBB4_13:
	s_or_b64 exec, exec, s[2:3]
	v_or_b32_e32 v7, 0x300, v0
	v_cmp_gt_u32_e64 s[2:3], s11, v7
	s_and_saveexec_b64 s[4:5], s[2:3]
	s_cbranch_execz .LBB4_15
; %bb.14:
	global_load_dword v4, v6, s[8:9] offset:3072
.LBB4_15:
	s_or_b64 exec, exec, s[4:5]
	s_waitcnt vmcnt(0)
	v_add_f32_e32 v2, v1, v2
	v_cndmask_b32_e32 v1, v1, v2, vcc
	v_add_f32_e32 v2, v3, v1
	v_cndmask_b32_e64 v1, v1, v2, s[0:1]
	v_add_f32_e32 v2, v4, v1
	v_cndmask_b32_e64 v1, v1, v2, s[2:3]
	v_mbcnt_hi_u32_b32 v2, -1, v5
	v_and_b32_e32 v4, 63, v2
	v_cmp_ne_u32_e32 vcc, 63, v4
	v_addc_co_u32_e32 v3, vcc, 0, v2, vcc
	v_lshlrev_b32_e32 v3, 2, v3
	ds_bpermute_b32 v3, v3, v1
	s_min_u32 s4, s11, 0x100
	v_and_b32_e32 v5, 0xc0, v0
	v_sub_u32_e64 v5, s4, v5 clamp
	v_add_u32_e32 v6, 1, v4
	v_cmp_gt_u32_e64 s[0:1], 62, v4
	s_waitcnt lgkmcnt(0)
	v_add_f32_e32 v3, v1, v3
	v_cmp_lt_u32_e32 vcc, v6, v5
	v_cndmask_b32_e64 v6, 0, 2, s[0:1]
	v_cndmask_b32_e32 v3, v1, v3, vcc
	v_add_lshl_u32 v6, v6, v2, 2
	ds_bpermute_b32 v6, v6, v3
	v_add_u32_e32 v7, 2, v4
	v_cmp_lt_u32_e64 s[0:1], v7, v5
	v_add_u32_e32 v7, 4, v4
	s_waitcnt lgkmcnt(0)
	v_add_f32_e32 v6, v3, v6
	v_cndmask_b32_e64 v3, v3, v6, s[0:1]
	v_cmp_gt_u32_e64 s[0:1], 60, v4
	v_cndmask_b32_e64 v6, 0, 4, s[0:1]
	v_add_lshl_u32 v6, v6, v2, 2
	ds_bpermute_b32 v6, v6, v3
	v_cmp_lt_u32_e64 s[0:1], v7, v5
	v_add_u32_e32 v7, 8, v4
	s_waitcnt lgkmcnt(0)
	v_add_f32_e32 v6, v3, v6
	v_cndmask_b32_e64 v3, v3, v6, s[0:1]
	v_cmp_gt_u32_e64 s[0:1], 56, v4
	v_cndmask_b32_e64 v6, 0, 8, s[0:1]
	v_add_lshl_u32 v6, v6, v2, 2
	ds_bpermute_b32 v6, v6, v3
	;; [unrolled: 9-line block ×3, first 2 shown]
	v_cmp_lt_u32_e64 s[0:1], v7, v5
	v_add_u32_e32 v4, 32, v4
	s_waitcnt lgkmcnt(0)
	v_add_f32_e32 v6, v3, v6
	v_cndmask_b32_e64 v6, v3, v6, s[0:1]
	v_lshlrev_b32_e32 v3, 2, v2
	v_or_b32_e32 v7, 0x80, v3
	ds_bpermute_b32 v7, v7, v6
	v_cmp_lt_u32_e64 s[0:1], v4, v5
	s_waitcnt lgkmcnt(0)
	v_add_f32_e32 v7, v6, v7
	v_cndmask_b32_e64 v4, v6, v7, s[0:1]
	v_cndmask_b32_e32 v1, v1, v4, vcc
	v_cmp_eq_u32_e32 vcc, 0, v2
	s_and_saveexec_b64 s[0:1], vcc
; %bb.16:
	v_lshrrev_b32_e32 v4, 4, v0
	v_and_b32_e32 v4, 12, v4
	ds_write_b32 v4, v1 offset:16
; %bb.17:
	s_or_b64 exec, exec, s[0:1]
	v_cmp_gt_u32_e32 vcc, 4, v0
	s_waitcnt lgkmcnt(0)
	s_barrier
	s_and_saveexec_b64 s[2:3], vcc
	s_cbranch_execz .LBB4_19
; %bb.18:
	ds_read_b32 v1, v3 offset:16
	v_and_b32_e32 v4, 3, v2
	v_cmp_ne_u32_e32 vcc, 3, v4
	v_addc_co_u32_e32 v2, vcc, 0, v2, vcc
	v_lshlrev_b32_e32 v2, 2, v2
	s_waitcnt lgkmcnt(0)
	ds_bpermute_b32 v2, v2, v1
	s_add_i32 s4, s4, 63
	s_lshr_b32 s0, s4, 6
	v_add_u32_e32 v5, 1, v4
	v_cmp_gt_u32_e32 vcc, s0, v5
	s_waitcnt lgkmcnt(0)
	v_add_f32_e32 v2, v1, v2
	v_cndmask_b32_e32 v2, v1, v2, vcc
	v_or_b32_e32 v3, 8, v3
	ds_bpermute_b32 v3, v3, v2
	v_add_u32_e32 v4, 2, v4
	v_cmp_gt_u32_e64 s[0:1], s0, v4
	s_waitcnt lgkmcnt(0)
	v_add_f32_e32 v3, v2, v3
	v_cndmask_b32_e64 v2, v2, v3, s[0:1]
	v_cndmask_b32_e32 v1, v1, v2, vcc
.LBB4_19:
	s_or_b64 exec, exec, s[2:3]
.LBB4_20:
	v_cmp_eq_u32_e32 vcc, 0, v0
	s_and_saveexec_b64 s[0:1], vcc
	s_cbranch_execnz .LBB4_22
; %bb.21:
	s_endpgm
.LBB4_22:
	s_mul_i32 s0, s18, s17
	s_mul_hi_u32 s1, s18, s16
	s_add_i32 s0, s1, s0
	s_mul_i32 s1, s19, s16
	s_add_i32 s1, s0, s1
	s_mul_i32 s0, s18, s16
	s_lshl_b64 s[0:1], s[0:1], 2
	s_add_u32 s2, s14, s0
	s_addc_u32 s3, s15, s1
	s_cmp_eq_u64 s[12:13], 0
	s_cselect_b64 vcc, -1, 0
	s_lshl_b64 s[0:1], s[6:7], 2
	s_waitcnt lgkmcnt(0)
	v_mov_b32_e32 v0, s10
	s_add_u32 s0, s2, s0
	v_cndmask_b32_e32 v0, v1, v0, vcc
	s_addc_u32 s1, s3, s1
	v_mov_b32_e32 v1, 0
	global_store_dword v1, v0, s[0:1]
	s_endpgm
	.section	.rodata,"a",@progbits
	.p2align	6, 0x0
	.amdhsa_kernel _ZN7rocprim17ROCPRIM_400000_NS6detail17trampoline_kernelINS0_14default_configENS1_22reduce_config_selectorIfEEZNS1_11reduce_implILb1ES3_PfS7_fN6thrust23THRUST_200600_302600_NS4plusIfEEEE10hipError_tPvRmT1_T2_T3_mT4_P12ihipStream_tbEUlT_E0_NS1_11comp_targetILNS1_3genE2ELNS1_11target_archE906ELNS1_3gpuE6ELNS1_3repE0EEENS1_30default_config_static_selectorELNS0_4arch9wavefront6targetE1EEEvSF_
		.amdhsa_group_segment_fixed_size 32
		.amdhsa_private_segment_fixed_size 0
		.amdhsa_kernarg_size 56
		.amdhsa_user_sgpr_count 6
		.amdhsa_user_sgpr_private_segment_buffer 1
		.amdhsa_user_sgpr_dispatch_ptr 0
		.amdhsa_user_sgpr_queue_ptr 0
		.amdhsa_user_sgpr_kernarg_segment_ptr 1
		.amdhsa_user_sgpr_dispatch_id 0
		.amdhsa_user_sgpr_flat_scratch_init 0
		.amdhsa_user_sgpr_private_segment_size 0
		.amdhsa_uses_dynamic_stack 0
		.amdhsa_system_sgpr_private_segment_wavefront_offset 0
		.amdhsa_system_sgpr_workgroup_id_x 1
		.amdhsa_system_sgpr_workgroup_id_y 0
		.amdhsa_system_sgpr_workgroup_id_z 0
		.amdhsa_system_sgpr_workgroup_info 0
		.amdhsa_system_vgpr_workitem_id 0
		.amdhsa_next_free_vgpr 11
		.amdhsa_next_free_sgpr 20
		.amdhsa_reserve_vcc 1
		.amdhsa_reserve_flat_scratch 0
		.amdhsa_float_round_mode_32 0
		.amdhsa_float_round_mode_16_64 0
		.amdhsa_float_denorm_mode_32 3
		.amdhsa_float_denorm_mode_16_64 3
		.amdhsa_dx10_clamp 1
		.amdhsa_ieee_mode 1
		.amdhsa_fp16_overflow 0
		.amdhsa_exception_fp_ieee_invalid_op 0
		.amdhsa_exception_fp_denorm_src 0
		.amdhsa_exception_fp_ieee_div_zero 0
		.amdhsa_exception_fp_ieee_overflow 0
		.amdhsa_exception_fp_ieee_underflow 0
		.amdhsa_exception_fp_ieee_inexact 0
		.amdhsa_exception_int_div_zero 0
	.end_amdhsa_kernel
	.section	.text._ZN7rocprim17ROCPRIM_400000_NS6detail17trampoline_kernelINS0_14default_configENS1_22reduce_config_selectorIfEEZNS1_11reduce_implILb1ES3_PfS7_fN6thrust23THRUST_200600_302600_NS4plusIfEEEE10hipError_tPvRmT1_T2_T3_mT4_P12ihipStream_tbEUlT_E0_NS1_11comp_targetILNS1_3genE2ELNS1_11target_archE906ELNS1_3gpuE6ELNS1_3repE0EEENS1_30default_config_static_selectorELNS0_4arch9wavefront6targetE1EEEvSF_,"axG",@progbits,_ZN7rocprim17ROCPRIM_400000_NS6detail17trampoline_kernelINS0_14default_configENS1_22reduce_config_selectorIfEEZNS1_11reduce_implILb1ES3_PfS7_fN6thrust23THRUST_200600_302600_NS4plusIfEEEE10hipError_tPvRmT1_T2_T3_mT4_P12ihipStream_tbEUlT_E0_NS1_11comp_targetILNS1_3genE2ELNS1_11target_archE906ELNS1_3gpuE6ELNS1_3repE0EEENS1_30default_config_static_selectorELNS0_4arch9wavefront6targetE1EEEvSF_,comdat
.Lfunc_end4:
	.size	_ZN7rocprim17ROCPRIM_400000_NS6detail17trampoline_kernelINS0_14default_configENS1_22reduce_config_selectorIfEEZNS1_11reduce_implILb1ES3_PfS7_fN6thrust23THRUST_200600_302600_NS4plusIfEEEE10hipError_tPvRmT1_T2_T3_mT4_P12ihipStream_tbEUlT_E0_NS1_11comp_targetILNS1_3genE2ELNS1_11target_archE906ELNS1_3gpuE6ELNS1_3repE0EEENS1_30default_config_static_selectorELNS0_4arch9wavefront6targetE1EEEvSF_, .Lfunc_end4-_ZN7rocprim17ROCPRIM_400000_NS6detail17trampoline_kernelINS0_14default_configENS1_22reduce_config_selectorIfEEZNS1_11reduce_implILb1ES3_PfS7_fN6thrust23THRUST_200600_302600_NS4plusIfEEEE10hipError_tPvRmT1_T2_T3_mT4_P12ihipStream_tbEUlT_E0_NS1_11comp_targetILNS1_3genE2ELNS1_11target_archE906ELNS1_3gpuE6ELNS1_3repE0EEENS1_30default_config_static_selectorELNS0_4arch9wavefront6targetE1EEEvSF_
                                        ; -- End function
	.set _ZN7rocprim17ROCPRIM_400000_NS6detail17trampoline_kernelINS0_14default_configENS1_22reduce_config_selectorIfEEZNS1_11reduce_implILb1ES3_PfS7_fN6thrust23THRUST_200600_302600_NS4plusIfEEEE10hipError_tPvRmT1_T2_T3_mT4_P12ihipStream_tbEUlT_E0_NS1_11comp_targetILNS1_3genE2ELNS1_11target_archE906ELNS1_3gpuE6ELNS1_3repE0EEENS1_30default_config_static_selectorELNS0_4arch9wavefront6targetE1EEEvSF_.num_vgpr, 11
	.set _ZN7rocprim17ROCPRIM_400000_NS6detail17trampoline_kernelINS0_14default_configENS1_22reduce_config_selectorIfEEZNS1_11reduce_implILb1ES3_PfS7_fN6thrust23THRUST_200600_302600_NS4plusIfEEEE10hipError_tPvRmT1_T2_T3_mT4_P12ihipStream_tbEUlT_E0_NS1_11comp_targetILNS1_3genE2ELNS1_11target_archE906ELNS1_3gpuE6ELNS1_3repE0EEENS1_30default_config_static_selectorELNS0_4arch9wavefront6targetE1EEEvSF_.num_agpr, 0
	.set _ZN7rocprim17ROCPRIM_400000_NS6detail17trampoline_kernelINS0_14default_configENS1_22reduce_config_selectorIfEEZNS1_11reduce_implILb1ES3_PfS7_fN6thrust23THRUST_200600_302600_NS4plusIfEEEE10hipError_tPvRmT1_T2_T3_mT4_P12ihipStream_tbEUlT_E0_NS1_11comp_targetILNS1_3genE2ELNS1_11target_archE906ELNS1_3gpuE6ELNS1_3repE0EEENS1_30default_config_static_selectorELNS0_4arch9wavefront6targetE1EEEvSF_.numbered_sgpr, 20
	.set _ZN7rocprim17ROCPRIM_400000_NS6detail17trampoline_kernelINS0_14default_configENS1_22reduce_config_selectorIfEEZNS1_11reduce_implILb1ES3_PfS7_fN6thrust23THRUST_200600_302600_NS4plusIfEEEE10hipError_tPvRmT1_T2_T3_mT4_P12ihipStream_tbEUlT_E0_NS1_11comp_targetILNS1_3genE2ELNS1_11target_archE906ELNS1_3gpuE6ELNS1_3repE0EEENS1_30default_config_static_selectorELNS0_4arch9wavefront6targetE1EEEvSF_.num_named_barrier, 0
	.set _ZN7rocprim17ROCPRIM_400000_NS6detail17trampoline_kernelINS0_14default_configENS1_22reduce_config_selectorIfEEZNS1_11reduce_implILb1ES3_PfS7_fN6thrust23THRUST_200600_302600_NS4plusIfEEEE10hipError_tPvRmT1_T2_T3_mT4_P12ihipStream_tbEUlT_E0_NS1_11comp_targetILNS1_3genE2ELNS1_11target_archE906ELNS1_3gpuE6ELNS1_3repE0EEENS1_30default_config_static_selectorELNS0_4arch9wavefront6targetE1EEEvSF_.private_seg_size, 0
	.set _ZN7rocprim17ROCPRIM_400000_NS6detail17trampoline_kernelINS0_14default_configENS1_22reduce_config_selectorIfEEZNS1_11reduce_implILb1ES3_PfS7_fN6thrust23THRUST_200600_302600_NS4plusIfEEEE10hipError_tPvRmT1_T2_T3_mT4_P12ihipStream_tbEUlT_E0_NS1_11comp_targetILNS1_3genE2ELNS1_11target_archE906ELNS1_3gpuE6ELNS1_3repE0EEENS1_30default_config_static_selectorELNS0_4arch9wavefront6targetE1EEEvSF_.uses_vcc, 1
	.set _ZN7rocprim17ROCPRIM_400000_NS6detail17trampoline_kernelINS0_14default_configENS1_22reduce_config_selectorIfEEZNS1_11reduce_implILb1ES3_PfS7_fN6thrust23THRUST_200600_302600_NS4plusIfEEEE10hipError_tPvRmT1_T2_T3_mT4_P12ihipStream_tbEUlT_E0_NS1_11comp_targetILNS1_3genE2ELNS1_11target_archE906ELNS1_3gpuE6ELNS1_3repE0EEENS1_30default_config_static_selectorELNS0_4arch9wavefront6targetE1EEEvSF_.uses_flat_scratch, 0
	.set _ZN7rocprim17ROCPRIM_400000_NS6detail17trampoline_kernelINS0_14default_configENS1_22reduce_config_selectorIfEEZNS1_11reduce_implILb1ES3_PfS7_fN6thrust23THRUST_200600_302600_NS4plusIfEEEE10hipError_tPvRmT1_T2_T3_mT4_P12ihipStream_tbEUlT_E0_NS1_11comp_targetILNS1_3genE2ELNS1_11target_archE906ELNS1_3gpuE6ELNS1_3repE0EEENS1_30default_config_static_selectorELNS0_4arch9wavefront6targetE1EEEvSF_.has_dyn_sized_stack, 0
	.set _ZN7rocprim17ROCPRIM_400000_NS6detail17trampoline_kernelINS0_14default_configENS1_22reduce_config_selectorIfEEZNS1_11reduce_implILb1ES3_PfS7_fN6thrust23THRUST_200600_302600_NS4plusIfEEEE10hipError_tPvRmT1_T2_T3_mT4_P12ihipStream_tbEUlT_E0_NS1_11comp_targetILNS1_3genE2ELNS1_11target_archE906ELNS1_3gpuE6ELNS1_3repE0EEENS1_30default_config_static_selectorELNS0_4arch9wavefront6targetE1EEEvSF_.has_recursion, 0
	.set _ZN7rocprim17ROCPRIM_400000_NS6detail17trampoline_kernelINS0_14default_configENS1_22reduce_config_selectorIfEEZNS1_11reduce_implILb1ES3_PfS7_fN6thrust23THRUST_200600_302600_NS4plusIfEEEE10hipError_tPvRmT1_T2_T3_mT4_P12ihipStream_tbEUlT_E0_NS1_11comp_targetILNS1_3genE2ELNS1_11target_archE906ELNS1_3gpuE6ELNS1_3repE0EEENS1_30default_config_static_selectorELNS0_4arch9wavefront6targetE1EEEvSF_.has_indirect_call, 0
	.section	.AMDGPU.csdata,"",@progbits
; Kernel info:
; codeLenInByte = 1232
; TotalNumSgprs: 24
; NumVgprs: 11
; ScratchSize: 0
; MemoryBound: 0
; FloatMode: 240
; IeeeMode: 1
; LDSByteSize: 32 bytes/workgroup (compile time only)
; SGPRBlocks: 2
; VGPRBlocks: 2
; NumSGPRsForWavesPerEU: 24
; NumVGPRsForWavesPerEU: 11
; Occupancy: 10
; WaveLimiterHint : 1
; COMPUTE_PGM_RSRC2:SCRATCH_EN: 0
; COMPUTE_PGM_RSRC2:USER_SGPR: 6
; COMPUTE_PGM_RSRC2:TRAP_HANDLER: 0
; COMPUTE_PGM_RSRC2:TGID_X_EN: 1
; COMPUTE_PGM_RSRC2:TGID_Y_EN: 0
; COMPUTE_PGM_RSRC2:TGID_Z_EN: 0
; COMPUTE_PGM_RSRC2:TIDIG_COMP_CNT: 0
	.section	.text._ZN7rocprim17ROCPRIM_400000_NS6detail17trampoline_kernelINS0_14default_configENS1_22reduce_config_selectorIfEEZNS1_11reduce_implILb1ES3_PfS7_fN6thrust23THRUST_200600_302600_NS4plusIfEEEE10hipError_tPvRmT1_T2_T3_mT4_P12ihipStream_tbEUlT_E0_NS1_11comp_targetILNS1_3genE10ELNS1_11target_archE1201ELNS1_3gpuE5ELNS1_3repE0EEENS1_30default_config_static_selectorELNS0_4arch9wavefront6targetE1EEEvSF_,"axG",@progbits,_ZN7rocprim17ROCPRIM_400000_NS6detail17trampoline_kernelINS0_14default_configENS1_22reduce_config_selectorIfEEZNS1_11reduce_implILb1ES3_PfS7_fN6thrust23THRUST_200600_302600_NS4plusIfEEEE10hipError_tPvRmT1_T2_T3_mT4_P12ihipStream_tbEUlT_E0_NS1_11comp_targetILNS1_3genE10ELNS1_11target_archE1201ELNS1_3gpuE5ELNS1_3repE0EEENS1_30default_config_static_selectorELNS0_4arch9wavefront6targetE1EEEvSF_,comdat
	.protected	_ZN7rocprim17ROCPRIM_400000_NS6detail17trampoline_kernelINS0_14default_configENS1_22reduce_config_selectorIfEEZNS1_11reduce_implILb1ES3_PfS7_fN6thrust23THRUST_200600_302600_NS4plusIfEEEE10hipError_tPvRmT1_T2_T3_mT4_P12ihipStream_tbEUlT_E0_NS1_11comp_targetILNS1_3genE10ELNS1_11target_archE1201ELNS1_3gpuE5ELNS1_3repE0EEENS1_30default_config_static_selectorELNS0_4arch9wavefront6targetE1EEEvSF_ ; -- Begin function _ZN7rocprim17ROCPRIM_400000_NS6detail17trampoline_kernelINS0_14default_configENS1_22reduce_config_selectorIfEEZNS1_11reduce_implILb1ES3_PfS7_fN6thrust23THRUST_200600_302600_NS4plusIfEEEE10hipError_tPvRmT1_T2_T3_mT4_P12ihipStream_tbEUlT_E0_NS1_11comp_targetILNS1_3genE10ELNS1_11target_archE1201ELNS1_3gpuE5ELNS1_3repE0EEENS1_30default_config_static_selectorELNS0_4arch9wavefront6targetE1EEEvSF_
	.globl	_ZN7rocprim17ROCPRIM_400000_NS6detail17trampoline_kernelINS0_14default_configENS1_22reduce_config_selectorIfEEZNS1_11reduce_implILb1ES3_PfS7_fN6thrust23THRUST_200600_302600_NS4plusIfEEEE10hipError_tPvRmT1_T2_T3_mT4_P12ihipStream_tbEUlT_E0_NS1_11comp_targetILNS1_3genE10ELNS1_11target_archE1201ELNS1_3gpuE5ELNS1_3repE0EEENS1_30default_config_static_selectorELNS0_4arch9wavefront6targetE1EEEvSF_
	.p2align	8
	.type	_ZN7rocprim17ROCPRIM_400000_NS6detail17trampoline_kernelINS0_14default_configENS1_22reduce_config_selectorIfEEZNS1_11reduce_implILb1ES3_PfS7_fN6thrust23THRUST_200600_302600_NS4plusIfEEEE10hipError_tPvRmT1_T2_T3_mT4_P12ihipStream_tbEUlT_E0_NS1_11comp_targetILNS1_3genE10ELNS1_11target_archE1201ELNS1_3gpuE5ELNS1_3repE0EEENS1_30default_config_static_selectorELNS0_4arch9wavefront6targetE1EEEvSF_,@function
_ZN7rocprim17ROCPRIM_400000_NS6detail17trampoline_kernelINS0_14default_configENS1_22reduce_config_selectorIfEEZNS1_11reduce_implILb1ES3_PfS7_fN6thrust23THRUST_200600_302600_NS4plusIfEEEE10hipError_tPvRmT1_T2_T3_mT4_P12ihipStream_tbEUlT_E0_NS1_11comp_targetILNS1_3genE10ELNS1_11target_archE1201ELNS1_3gpuE5ELNS1_3repE0EEENS1_30default_config_static_selectorELNS0_4arch9wavefront6targetE1EEEvSF_: ; @_ZN7rocprim17ROCPRIM_400000_NS6detail17trampoline_kernelINS0_14default_configENS1_22reduce_config_selectorIfEEZNS1_11reduce_implILb1ES3_PfS7_fN6thrust23THRUST_200600_302600_NS4plusIfEEEE10hipError_tPvRmT1_T2_T3_mT4_P12ihipStream_tbEUlT_E0_NS1_11comp_targetILNS1_3genE10ELNS1_11target_archE1201ELNS1_3gpuE5ELNS1_3repE0EEENS1_30default_config_static_selectorELNS0_4arch9wavefront6targetE1EEEvSF_
; %bb.0:
	.section	.rodata,"a",@progbits
	.p2align	6, 0x0
	.amdhsa_kernel _ZN7rocprim17ROCPRIM_400000_NS6detail17trampoline_kernelINS0_14default_configENS1_22reduce_config_selectorIfEEZNS1_11reduce_implILb1ES3_PfS7_fN6thrust23THRUST_200600_302600_NS4plusIfEEEE10hipError_tPvRmT1_T2_T3_mT4_P12ihipStream_tbEUlT_E0_NS1_11comp_targetILNS1_3genE10ELNS1_11target_archE1201ELNS1_3gpuE5ELNS1_3repE0EEENS1_30default_config_static_selectorELNS0_4arch9wavefront6targetE1EEEvSF_
		.amdhsa_group_segment_fixed_size 0
		.amdhsa_private_segment_fixed_size 0
		.amdhsa_kernarg_size 56
		.amdhsa_user_sgpr_count 6
		.amdhsa_user_sgpr_private_segment_buffer 1
		.amdhsa_user_sgpr_dispatch_ptr 0
		.amdhsa_user_sgpr_queue_ptr 0
		.amdhsa_user_sgpr_kernarg_segment_ptr 1
		.amdhsa_user_sgpr_dispatch_id 0
		.amdhsa_user_sgpr_flat_scratch_init 0
		.amdhsa_user_sgpr_private_segment_size 0
		.amdhsa_uses_dynamic_stack 0
		.amdhsa_system_sgpr_private_segment_wavefront_offset 0
		.amdhsa_system_sgpr_workgroup_id_x 1
		.amdhsa_system_sgpr_workgroup_id_y 0
		.amdhsa_system_sgpr_workgroup_id_z 0
		.amdhsa_system_sgpr_workgroup_info 0
		.amdhsa_system_vgpr_workitem_id 0
		.amdhsa_next_free_vgpr 1
		.amdhsa_next_free_sgpr 0
		.amdhsa_reserve_vcc 0
		.amdhsa_reserve_flat_scratch 0
		.amdhsa_float_round_mode_32 0
		.amdhsa_float_round_mode_16_64 0
		.amdhsa_float_denorm_mode_32 3
		.amdhsa_float_denorm_mode_16_64 3
		.amdhsa_dx10_clamp 1
		.amdhsa_ieee_mode 1
		.amdhsa_fp16_overflow 0
		.amdhsa_exception_fp_ieee_invalid_op 0
		.amdhsa_exception_fp_denorm_src 0
		.amdhsa_exception_fp_ieee_div_zero 0
		.amdhsa_exception_fp_ieee_overflow 0
		.amdhsa_exception_fp_ieee_underflow 0
		.amdhsa_exception_fp_ieee_inexact 0
		.amdhsa_exception_int_div_zero 0
	.end_amdhsa_kernel
	.section	.text._ZN7rocprim17ROCPRIM_400000_NS6detail17trampoline_kernelINS0_14default_configENS1_22reduce_config_selectorIfEEZNS1_11reduce_implILb1ES3_PfS7_fN6thrust23THRUST_200600_302600_NS4plusIfEEEE10hipError_tPvRmT1_T2_T3_mT4_P12ihipStream_tbEUlT_E0_NS1_11comp_targetILNS1_3genE10ELNS1_11target_archE1201ELNS1_3gpuE5ELNS1_3repE0EEENS1_30default_config_static_selectorELNS0_4arch9wavefront6targetE1EEEvSF_,"axG",@progbits,_ZN7rocprim17ROCPRIM_400000_NS6detail17trampoline_kernelINS0_14default_configENS1_22reduce_config_selectorIfEEZNS1_11reduce_implILb1ES3_PfS7_fN6thrust23THRUST_200600_302600_NS4plusIfEEEE10hipError_tPvRmT1_T2_T3_mT4_P12ihipStream_tbEUlT_E0_NS1_11comp_targetILNS1_3genE10ELNS1_11target_archE1201ELNS1_3gpuE5ELNS1_3repE0EEENS1_30default_config_static_selectorELNS0_4arch9wavefront6targetE1EEEvSF_,comdat
.Lfunc_end5:
	.size	_ZN7rocprim17ROCPRIM_400000_NS6detail17trampoline_kernelINS0_14default_configENS1_22reduce_config_selectorIfEEZNS1_11reduce_implILb1ES3_PfS7_fN6thrust23THRUST_200600_302600_NS4plusIfEEEE10hipError_tPvRmT1_T2_T3_mT4_P12ihipStream_tbEUlT_E0_NS1_11comp_targetILNS1_3genE10ELNS1_11target_archE1201ELNS1_3gpuE5ELNS1_3repE0EEENS1_30default_config_static_selectorELNS0_4arch9wavefront6targetE1EEEvSF_, .Lfunc_end5-_ZN7rocprim17ROCPRIM_400000_NS6detail17trampoline_kernelINS0_14default_configENS1_22reduce_config_selectorIfEEZNS1_11reduce_implILb1ES3_PfS7_fN6thrust23THRUST_200600_302600_NS4plusIfEEEE10hipError_tPvRmT1_T2_T3_mT4_P12ihipStream_tbEUlT_E0_NS1_11comp_targetILNS1_3genE10ELNS1_11target_archE1201ELNS1_3gpuE5ELNS1_3repE0EEENS1_30default_config_static_selectorELNS0_4arch9wavefront6targetE1EEEvSF_
                                        ; -- End function
	.set _ZN7rocprim17ROCPRIM_400000_NS6detail17trampoline_kernelINS0_14default_configENS1_22reduce_config_selectorIfEEZNS1_11reduce_implILb1ES3_PfS7_fN6thrust23THRUST_200600_302600_NS4plusIfEEEE10hipError_tPvRmT1_T2_T3_mT4_P12ihipStream_tbEUlT_E0_NS1_11comp_targetILNS1_3genE10ELNS1_11target_archE1201ELNS1_3gpuE5ELNS1_3repE0EEENS1_30default_config_static_selectorELNS0_4arch9wavefront6targetE1EEEvSF_.num_vgpr, 0
	.set _ZN7rocprim17ROCPRIM_400000_NS6detail17trampoline_kernelINS0_14default_configENS1_22reduce_config_selectorIfEEZNS1_11reduce_implILb1ES3_PfS7_fN6thrust23THRUST_200600_302600_NS4plusIfEEEE10hipError_tPvRmT1_T2_T3_mT4_P12ihipStream_tbEUlT_E0_NS1_11comp_targetILNS1_3genE10ELNS1_11target_archE1201ELNS1_3gpuE5ELNS1_3repE0EEENS1_30default_config_static_selectorELNS0_4arch9wavefront6targetE1EEEvSF_.num_agpr, 0
	.set _ZN7rocprim17ROCPRIM_400000_NS6detail17trampoline_kernelINS0_14default_configENS1_22reduce_config_selectorIfEEZNS1_11reduce_implILb1ES3_PfS7_fN6thrust23THRUST_200600_302600_NS4plusIfEEEE10hipError_tPvRmT1_T2_T3_mT4_P12ihipStream_tbEUlT_E0_NS1_11comp_targetILNS1_3genE10ELNS1_11target_archE1201ELNS1_3gpuE5ELNS1_3repE0EEENS1_30default_config_static_selectorELNS0_4arch9wavefront6targetE1EEEvSF_.numbered_sgpr, 0
	.set _ZN7rocprim17ROCPRIM_400000_NS6detail17trampoline_kernelINS0_14default_configENS1_22reduce_config_selectorIfEEZNS1_11reduce_implILb1ES3_PfS7_fN6thrust23THRUST_200600_302600_NS4plusIfEEEE10hipError_tPvRmT1_T2_T3_mT4_P12ihipStream_tbEUlT_E0_NS1_11comp_targetILNS1_3genE10ELNS1_11target_archE1201ELNS1_3gpuE5ELNS1_3repE0EEENS1_30default_config_static_selectorELNS0_4arch9wavefront6targetE1EEEvSF_.num_named_barrier, 0
	.set _ZN7rocprim17ROCPRIM_400000_NS6detail17trampoline_kernelINS0_14default_configENS1_22reduce_config_selectorIfEEZNS1_11reduce_implILb1ES3_PfS7_fN6thrust23THRUST_200600_302600_NS4plusIfEEEE10hipError_tPvRmT1_T2_T3_mT4_P12ihipStream_tbEUlT_E0_NS1_11comp_targetILNS1_3genE10ELNS1_11target_archE1201ELNS1_3gpuE5ELNS1_3repE0EEENS1_30default_config_static_selectorELNS0_4arch9wavefront6targetE1EEEvSF_.private_seg_size, 0
	.set _ZN7rocprim17ROCPRIM_400000_NS6detail17trampoline_kernelINS0_14default_configENS1_22reduce_config_selectorIfEEZNS1_11reduce_implILb1ES3_PfS7_fN6thrust23THRUST_200600_302600_NS4plusIfEEEE10hipError_tPvRmT1_T2_T3_mT4_P12ihipStream_tbEUlT_E0_NS1_11comp_targetILNS1_3genE10ELNS1_11target_archE1201ELNS1_3gpuE5ELNS1_3repE0EEENS1_30default_config_static_selectorELNS0_4arch9wavefront6targetE1EEEvSF_.uses_vcc, 0
	.set _ZN7rocprim17ROCPRIM_400000_NS6detail17trampoline_kernelINS0_14default_configENS1_22reduce_config_selectorIfEEZNS1_11reduce_implILb1ES3_PfS7_fN6thrust23THRUST_200600_302600_NS4plusIfEEEE10hipError_tPvRmT1_T2_T3_mT4_P12ihipStream_tbEUlT_E0_NS1_11comp_targetILNS1_3genE10ELNS1_11target_archE1201ELNS1_3gpuE5ELNS1_3repE0EEENS1_30default_config_static_selectorELNS0_4arch9wavefront6targetE1EEEvSF_.uses_flat_scratch, 0
	.set _ZN7rocprim17ROCPRIM_400000_NS6detail17trampoline_kernelINS0_14default_configENS1_22reduce_config_selectorIfEEZNS1_11reduce_implILb1ES3_PfS7_fN6thrust23THRUST_200600_302600_NS4plusIfEEEE10hipError_tPvRmT1_T2_T3_mT4_P12ihipStream_tbEUlT_E0_NS1_11comp_targetILNS1_3genE10ELNS1_11target_archE1201ELNS1_3gpuE5ELNS1_3repE0EEENS1_30default_config_static_selectorELNS0_4arch9wavefront6targetE1EEEvSF_.has_dyn_sized_stack, 0
	.set _ZN7rocprim17ROCPRIM_400000_NS6detail17trampoline_kernelINS0_14default_configENS1_22reduce_config_selectorIfEEZNS1_11reduce_implILb1ES3_PfS7_fN6thrust23THRUST_200600_302600_NS4plusIfEEEE10hipError_tPvRmT1_T2_T3_mT4_P12ihipStream_tbEUlT_E0_NS1_11comp_targetILNS1_3genE10ELNS1_11target_archE1201ELNS1_3gpuE5ELNS1_3repE0EEENS1_30default_config_static_selectorELNS0_4arch9wavefront6targetE1EEEvSF_.has_recursion, 0
	.set _ZN7rocprim17ROCPRIM_400000_NS6detail17trampoline_kernelINS0_14default_configENS1_22reduce_config_selectorIfEEZNS1_11reduce_implILb1ES3_PfS7_fN6thrust23THRUST_200600_302600_NS4plusIfEEEE10hipError_tPvRmT1_T2_T3_mT4_P12ihipStream_tbEUlT_E0_NS1_11comp_targetILNS1_3genE10ELNS1_11target_archE1201ELNS1_3gpuE5ELNS1_3repE0EEENS1_30default_config_static_selectorELNS0_4arch9wavefront6targetE1EEEvSF_.has_indirect_call, 0
	.section	.AMDGPU.csdata,"",@progbits
; Kernel info:
; codeLenInByte = 0
; TotalNumSgprs: 4
; NumVgprs: 0
; ScratchSize: 0
; MemoryBound: 0
; FloatMode: 240
; IeeeMode: 1
; LDSByteSize: 0 bytes/workgroup (compile time only)
; SGPRBlocks: 0
; VGPRBlocks: 0
; NumSGPRsForWavesPerEU: 4
; NumVGPRsForWavesPerEU: 1
; Occupancy: 10
; WaveLimiterHint : 0
; COMPUTE_PGM_RSRC2:SCRATCH_EN: 0
; COMPUTE_PGM_RSRC2:USER_SGPR: 6
; COMPUTE_PGM_RSRC2:TRAP_HANDLER: 0
; COMPUTE_PGM_RSRC2:TGID_X_EN: 1
; COMPUTE_PGM_RSRC2:TGID_Y_EN: 0
; COMPUTE_PGM_RSRC2:TGID_Z_EN: 0
; COMPUTE_PGM_RSRC2:TIDIG_COMP_CNT: 0
	.section	.text._ZN7rocprim17ROCPRIM_400000_NS6detail17trampoline_kernelINS0_14default_configENS1_22reduce_config_selectorIfEEZNS1_11reduce_implILb1ES3_PfS7_fN6thrust23THRUST_200600_302600_NS4plusIfEEEE10hipError_tPvRmT1_T2_T3_mT4_P12ihipStream_tbEUlT_E0_NS1_11comp_targetILNS1_3genE10ELNS1_11target_archE1200ELNS1_3gpuE4ELNS1_3repE0EEENS1_30default_config_static_selectorELNS0_4arch9wavefront6targetE1EEEvSF_,"axG",@progbits,_ZN7rocprim17ROCPRIM_400000_NS6detail17trampoline_kernelINS0_14default_configENS1_22reduce_config_selectorIfEEZNS1_11reduce_implILb1ES3_PfS7_fN6thrust23THRUST_200600_302600_NS4plusIfEEEE10hipError_tPvRmT1_T2_T3_mT4_P12ihipStream_tbEUlT_E0_NS1_11comp_targetILNS1_3genE10ELNS1_11target_archE1200ELNS1_3gpuE4ELNS1_3repE0EEENS1_30default_config_static_selectorELNS0_4arch9wavefront6targetE1EEEvSF_,comdat
	.protected	_ZN7rocprim17ROCPRIM_400000_NS6detail17trampoline_kernelINS0_14default_configENS1_22reduce_config_selectorIfEEZNS1_11reduce_implILb1ES3_PfS7_fN6thrust23THRUST_200600_302600_NS4plusIfEEEE10hipError_tPvRmT1_T2_T3_mT4_P12ihipStream_tbEUlT_E0_NS1_11comp_targetILNS1_3genE10ELNS1_11target_archE1200ELNS1_3gpuE4ELNS1_3repE0EEENS1_30default_config_static_selectorELNS0_4arch9wavefront6targetE1EEEvSF_ ; -- Begin function _ZN7rocprim17ROCPRIM_400000_NS6detail17trampoline_kernelINS0_14default_configENS1_22reduce_config_selectorIfEEZNS1_11reduce_implILb1ES3_PfS7_fN6thrust23THRUST_200600_302600_NS4plusIfEEEE10hipError_tPvRmT1_T2_T3_mT4_P12ihipStream_tbEUlT_E0_NS1_11comp_targetILNS1_3genE10ELNS1_11target_archE1200ELNS1_3gpuE4ELNS1_3repE0EEENS1_30default_config_static_selectorELNS0_4arch9wavefront6targetE1EEEvSF_
	.globl	_ZN7rocprim17ROCPRIM_400000_NS6detail17trampoline_kernelINS0_14default_configENS1_22reduce_config_selectorIfEEZNS1_11reduce_implILb1ES3_PfS7_fN6thrust23THRUST_200600_302600_NS4plusIfEEEE10hipError_tPvRmT1_T2_T3_mT4_P12ihipStream_tbEUlT_E0_NS1_11comp_targetILNS1_3genE10ELNS1_11target_archE1200ELNS1_3gpuE4ELNS1_3repE0EEENS1_30default_config_static_selectorELNS0_4arch9wavefront6targetE1EEEvSF_
	.p2align	8
	.type	_ZN7rocprim17ROCPRIM_400000_NS6detail17trampoline_kernelINS0_14default_configENS1_22reduce_config_selectorIfEEZNS1_11reduce_implILb1ES3_PfS7_fN6thrust23THRUST_200600_302600_NS4plusIfEEEE10hipError_tPvRmT1_T2_T3_mT4_P12ihipStream_tbEUlT_E0_NS1_11comp_targetILNS1_3genE10ELNS1_11target_archE1200ELNS1_3gpuE4ELNS1_3repE0EEENS1_30default_config_static_selectorELNS0_4arch9wavefront6targetE1EEEvSF_,@function
_ZN7rocprim17ROCPRIM_400000_NS6detail17trampoline_kernelINS0_14default_configENS1_22reduce_config_selectorIfEEZNS1_11reduce_implILb1ES3_PfS7_fN6thrust23THRUST_200600_302600_NS4plusIfEEEE10hipError_tPvRmT1_T2_T3_mT4_P12ihipStream_tbEUlT_E0_NS1_11comp_targetILNS1_3genE10ELNS1_11target_archE1200ELNS1_3gpuE4ELNS1_3repE0EEENS1_30default_config_static_selectorELNS0_4arch9wavefront6targetE1EEEvSF_: ; @_ZN7rocprim17ROCPRIM_400000_NS6detail17trampoline_kernelINS0_14default_configENS1_22reduce_config_selectorIfEEZNS1_11reduce_implILb1ES3_PfS7_fN6thrust23THRUST_200600_302600_NS4plusIfEEEE10hipError_tPvRmT1_T2_T3_mT4_P12ihipStream_tbEUlT_E0_NS1_11comp_targetILNS1_3genE10ELNS1_11target_archE1200ELNS1_3gpuE4ELNS1_3repE0EEENS1_30default_config_static_selectorELNS0_4arch9wavefront6targetE1EEEvSF_
; %bb.0:
	.section	.rodata,"a",@progbits
	.p2align	6, 0x0
	.amdhsa_kernel _ZN7rocprim17ROCPRIM_400000_NS6detail17trampoline_kernelINS0_14default_configENS1_22reduce_config_selectorIfEEZNS1_11reduce_implILb1ES3_PfS7_fN6thrust23THRUST_200600_302600_NS4plusIfEEEE10hipError_tPvRmT1_T2_T3_mT4_P12ihipStream_tbEUlT_E0_NS1_11comp_targetILNS1_3genE10ELNS1_11target_archE1200ELNS1_3gpuE4ELNS1_3repE0EEENS1_30default_config_static_selectorELNS0_4arch9wavefront6targetE1EEEvSF_
		.amdhsa_group_segment_fixed_size 0
		.amdhsa_private_segment_fixed_size 0
		.amdhsa_kernarg_size 56
		.amdhsa_user_sgpr_count 6
		.amdhsa_user_sgpr_private_segment_buffer 1
		.amdhsa_user_sgpr_dispatch_ptr 0
		.amdhsa_user_sgpr_queue_ptr 0
		.amdhsa_user_sgpr_kernarg_segment_ptr 1
		.amdhsa_user_sgpr_dispatch_id 0
		.amdhsa_user_sgpr_flat_scratch_init 0
		.amdhsa_user_sgpr_private_segment_size 0
		.amdhsa_uses_dynamic_stack 0
		.amdhsa_system_sgpr_private_segment_wavefront_offset 0
		.amdhsa_system_sgpr_workgroup_id_x 1
		.amdhsa_system_sgpr_workgroup_id_y 0
		.amdhsa_system_sgpr_workgroup_id_z 0
		.amdhsa_system_sgpr_workgroup_info 0
		.amdhsa_system_vgpr_workitem_id 0
		.amdhsa_next_free_vgpr 1
		.amdhsa_next_free_sgpr 0
		.amdhsa_reserve_vcc 0
		.amdhsa_reserve_flat_scratch 0
		.amdhsa_float_round_mode_32 0
		.amdhsa_float_round_mode_16_64 0
		.amdhsa_float_denorm_mode_32 3
		.amdhsa_float_denorm_mode_16_64 3
		.amdhsa_dx10_clamp 1
		.amdhsa_ieee_mode 1
		.amdhsa_fp16_overflow 0
		.amdhsa_exception_fp_ieee_invalid_op 0
		.amdhsa_exception_fp_denorm_src 0
		.amdhsa_exception_fp_ieee_div_zero 0
		.amdhsa_exception_fp_ieee_overflow 0
		.amdhsa_exception_fp_ieee_underflow 0
		.amdhsa_exception_fp_ieee_inexact 0
		.amdhsa_exception_int_div_zero 0
	.end_amdhsa_kernel
	.section	.text._ZN7rocprim17ROCPRIM_400000_NS6detail17trampoline_kernelINS0_14default_configENS1_22reduce_config_selectorIfEEZNS1_11reduce_implILb1ES3_PfS7_fN6thrust23THRUST_200600_302600_NS4plusIfEEEE10hipError_tPvRmT1_T2_T3_mT4_P12ihipStream_tbEUlT_E0_NS1_11comp_targetILNS1_3genE10ELNS1_11target_archE1200ELNS1_3gpuE4ELNS1_3repE0EEENS1_30default_config_static_selectorELNS0_4arch9wavefront6targetE1EEEvSF_,"axG",@progbits,_ZN7rocprim17ROCPRIM_400000_NS6detail17trampoline_kernelINS0_14default_configENS1_22reduce_config_selectorIfEEZNS1_11reduce_implILb1ES3_PfS7_fN6thrust23THRUST_200600_302600_NS4plusIfEEEE10hipError_tPvRmT1_T2_T3_mT4_P12ihipStream_tbEUlT_E0_NS1_11comp_targetILNS1_3genE10ELNS1_11target_archE1200ELNS1_3gpuE4ELNS1_3repE0EEENS1_30default_config_static_selectorELNS0_4arch9wavefront6targetE1EEEvSF_,comdat
.Lfunc_end6:
	.size	_ZN7rocprim17ROCPRIM_400000_NS6detail17trampoline_kernelINS0_14default_configENS1_22reduce_config_selectorIfEEZNS1_11reduce_implILb1ES3_PfS7_fN6thrust23THRUST_200600_302600_NS4plusIfEEEE10hipError_tPvRmT1_T2_T3_mT4_P12ihipStream_tbEUlT_E0_NS1_11comp_targetILNS1_3genE10ELNS1_11target_archE1200ELNS1_3gpuE4ELNS1_3repE0EEENS1_30default_config_static_selectorELNS0_4arch9wavefront6targetE1EEEvSF_, .Lfunc_end6-_ZN7rocprim17ROCPRIM_400000_NS6detail17trampoline_kernelINS0_14default_configENS1_22reduce_config_selectorIfEEZNS1_11reduce_implILb1ES3_PfS7_fN6thrust23THRUST_200600_302600_NS4plusIfEEEE10hipError_tPvRmT1_T2_T3_mT4_P12ihipStream_tbEUlT_E0_NS1_11comp_targetILNS1_3genE10ELNS1_11target_archE1200ELNS1_3gpuE4ELNS1_3repE0EEENS1_30default_config_static_selectorELNS0_4arch9wavefront6targetE1EEEvSF_
                                        ; -- End function
	.set _ZN7rocprim17ROCPRIM_400000_NS6detail17trampoline_kernelINS0_14default_configENS1_22reduce_config_selectorIfEEZNS1_11reduce_implILb1ES3_PfS7_fN6thrust23THRUST_200600_302600_NS4plusIfEEEE10hipError_tPvRmT1_T2_T3_mT4_P12ihipStream_tbEUlT_E0_NS1_11comp_targetILNS1_3genE10ELNS1_11target_archE1200ELNS1_3gpuE4ELNS1_3repE0EEENS1_30default_config_static_selectorELNS0_4arch9wavefront6targetE1EEEvSF_.num_vgpr, 0
	.set _ZN7rocprim17ROCPRIM_400000_NS6detail17trampoline_kernelINS0_14default_configENS1_22reduce_config_selectorIfEEZNS1_11reduce_implILb1ES3_PfS7_fN6thrust23THRUST_200600_302600_NS4plusIfEEEE10hipError_tPvRmT1_T2_T3_mT4_P12ihipStream_tbEUlT_E0_NS1_11comp_targetILNS1_3genE10ELNS1_11target_archE1200ELNS1_3gpuE4ELNS1_3repE0EEENS1_30default_config_static_selectorELNS0_4arch9wavefront6targetE1EEEvSF_.num_agpr, 0
	.set _ZN7rocprim17ROCPRIM_400000_NS6detail17trampoline_kernelINS0_14default_configENS1_22reduce_config_selectorIfEEZNS1_11reduce_implILb1ES3_PfS7_fN6thrust23THRUST_200600_302600_NS4plusIfEEEE10hipError_tPvRmT1_T2_T3_mT4_P12ihipStream_tbEUlT_E0_NS1_11comp_targetILNS1_3genE10ELNS1_11target_archE1200ELNS1_3gpuE4ELNS1_3repE0EEENS1_30default_config_static_selectorELNS0_4arch9wavefront6targetE1EEEvSF_.numbered_sgpr, 0
	.set _ZN7rocprim17ROCPRIM_400000_NS6detail17trampoline_kernelINS0_14default_configENS1_22reduce_config_selectorIfEEZNS1_11reduce_implILb1ES3_PfS7_fN6thrust23THRUST_200600_302600_NS4plusIfEEEE10hipError_tPvRmT1_T2_T3_mT4_P12ihipStream_tbEUlT_E0_NS1_11comp_targetILNS1_3genE10ELNS1_11target_archE1200ELNS1_3gpuE4ELNS1_3repE0EEENS1_30default_config_static_selectorELNS0_4arch9wavefront6targetE1EEEvSF_.num_named_barrier, 0
	.set _ZN7rocprim17ROCPRIM_400000_NS6detail17trampoline_kernelINS0_14default_configENS1_22reduce_config_selectorIfEEZNS1_11reduce_implILb1ES3_PfS7_fN6thrust23THRUST_200600_302600_NS4plusIfEEEE10hipError_tPvRmT1_T2_T3_mT4_P12ihipStream_tbEUlT_E0_NS1_11comp_targetILNS1_3genE10ELNS1_11target_archE1200ELNS1_3gpuE4ELNS1_3repE0EEENS1_30default_config_static_selectorELNS0_4arch9wavefront6targetE1EEEvSF_.private_seg_size, 0
	.set _ZN7rocprim17ROCPRIM_400000_NS6detail17trampoline_kernelINS0_14default_configENS1_22reduce_config_selectorIfEEZNS1_11reduce_implILb1ES3_PfS7_fN6thrust23THRUST_200600_302600_NS4plusIfEEEE10hipError_tPvRmT1_T2_T3_mT4_P12ihipStream_tbEUlT_E0_NS1_11comp_targetILNS1_3genE10ELNS1_11target_archE1200ELNS1_3gpuE4ELNS1_3repE0EEENS1_30default_config_static_selectorELNS0_4arch9wavefront6targetE1EEEvSF_.uses_vcc, 0
	.set _ZN7rocprim17ROCPRIM_400000_NS6detail17trampoline_kernelINS0_14default_configENS1_22reduce_config_selectorIfEEZNS1_11reduce_implILb1ES3_PfS7_fN6thrust23THRUST_200600_302600_NS4plusIfEEEE10hipError_tPvRmT1_T2_T3_mT4_P12ihipStream_tbEUlT_E0_NS1_11comp_targetILNS1_3genE10ELNS1_11target_archE1200ELNS1_3gpuE4ELNS1_3repE0EEENS1_30default_config_static_selectorELNS0_4arch9wavefront6targetE1EEEvSF_.uses_flat_scratch, 0
	.set _ZN7rocprim17ROCPRIM_400000_NS6detail17trampoline_kernelINS0_14default_configENS1_22reduce_config_selectorIfEEZNS1_11reduce_implILb1ES3_PfS7_fN6thrust23THRUST_200600_302600_NS4plusIfEEEE10hipError_tPvRmT1_T2_T3_mT4_P12ihipStream_tbEUlT_E0_NS1_11comp_targetILNS1_3genE10ELNS1_11target_archE1200ELNS1_3gpuE4ELNS1_3repE0EEENS1_30default_config_static_selectorELNS0_4arch9wavefront6targetE1EEEvSF_.has_dyn_sized_stack, 0
	.set _ZN7rocprim17ROCPRIM_400000_NS6detail17trampoline_kernelINS0_14default_configENS1_22reduce_config_selectorIfEEZNS1_11reduce_implILb1ES3_PfS7_fN6thrust23THRUST_200600_302600_NS4plusIfEEEE10hipError_tPvRmT1_T2_T3_mT4_P12ihipStream_tbEUlT_E0_NS1_11comp_targetILNS1_3genE10ELNS1_11target_archE1200ELNS1_3gpuE4ELNS1_3repE0EEENS1_30default_config_static_selectorELNS0_4arch9wavefront6targetE1EEEvSF_.has_recursion, 0
	.set _ZN7rocprim17ROCPRIM_400000_NS6detail17trampoline_kernelINS0_14default_configENS1_22reduce_config_selectorIfEEZNS1_11reduce_implILb1ES3_PfS7_fN6thrust23THRUST_200600_302600_NS4plusIfEEEE10hipError_tPvRmT1_T2_T3_mT4_P12ihipStream_tbEUlT_E0_NS1_11comp_targetILNS1_3genE10ELNS1_11target_archE1200ELNS1_3gpuE4ELNS1_3repE0EEENS1_30default_config_static_selectorELNS0_4arch9wavefront6targetE1EEEvSF_.has_indirect_call, 0
	.section	.AMDGPU.csdata,"",@progbits
; Kernel info:
; codeLenInByte = 0
; TotalNumSgprs: 4
; NumVgprs: 0
; ScratchSize: 0
; MemoryBound: 0
; FloatMode: 240
; IeeeMode: 1
; LDSByteSize: 0 bytes/workgroup (compile time only)
; SGPRBlocks: 0
; VGPRBlocks: 0
; NumSGPRsForWavesPerEU: 4
; NumVGPRsForWavesPerEU: 1
; Occupancy: 10
; WaveLimiterHint : 0
; COMPUTE_PGM_RSRC2:SCRATCH_EN: 0
; COMPUTE_PGM_RSRC2:USER_SGPR: 6
; COMPUTE_PGM_RSRC2:TRAP_HANDLER: 0
; COMPUTE_PGM_RSRC2:TGID_X_EN: 1
; COMPUTE_PGM_RSRC2:TGID_Y_EN: 0
; COMPUTE_PGM_RSRC2:TGID_Z_EN: 0
; COMPUTE_PGM_RSRC2:TIDIG_COMP_CNT: 0
	.section	.text._ZN7rocprim17ROCPRIM_400000_NS6detail17trampoline_kernelINS0_14default_configENS1_22reduce_config_selectorIfEEZNS1_11reduce_implILb1ES3_PfS7_fN6thrust23THRUST_200600_302600_NS4plusIfEEEE10hipError_tPvRmT1_T2_T3_mT4_P12ihipStream_tbEUlT_E0_NS1_11comp_targetILNS1_3genE9ELNS1_11target_archE1100ELNS1_3gpuE3ELNS1_3repE0EEENS1_30default_config_static_selectorELNS0_4arch9wavefront6targetE1EEEvSF_,"axG",@progbits,_ZN7rocprim17ROCPRIM_400000_NS6detail17trampoline_kernelINS0_14default_configENS1_22reduce_config_selectorIfEEZNS1_11reduce_implILb1ES3_PfS7_fN6thrust23THRUST_200600_302600_NS4plusIfEEEE10hipError_tPvRmT1_T2_T3_mT4_P12ihipStream_tbEUlT_E0_NS1_11comp_targetILNS1_3genE9ELNS1_11target_archE1100ELNS1_3gpuE3ELNS1_3repE0EEENS1_30default_config_static_selectorELNS0_4arch9wavefront6targetE1EEEvSF_,comdat
	.protected	_ZN7rocprim17ROCPRIM_400000_NS6detail17trampoline_kernelINS0_14default_configENS1_22reduce_config_selectorIfEEZNS1_11reduce_implILb1ES3_PfS7_fN6thrust23THRUST_200600_302600_NS4plusIfEEEE10hipError_tPvRmT1_T2_T3_mT4_P12ihipStream_tbEUlT_E0_NS1_11comp_targetILNS1_3genE9ELNS1_11target_archE1100ELNS1_3gpuE3ELNS1_3repE0EEENS1_30default_config_static_selectorELNS0_4arch9wavefront6targetE1EEEvSF_ ; -- Begin function _ZN7rocprim17ROCPRIM_400000_NS6detail17trampoline_kernelINS0_14default_configENS1_22reduce_config_selectorIfEEZNS1_11reduce_implILb1ES3_PfS7_fN6thrust23THRUST_200600_302600_NS4plusIfEEEE10hipError_tPvRmT1_T2_T3_mT4_P12ihipStream_tbEUlT_E0_NS1_11comp_targetILNS1_3genE9ELNS1_11target_archE1100ELNS1_3gpuE3ELNS1_3repE0EEENS1_30default_config_static_selectorELNS0_4arch9wavefront6targetE1EEEvSF_
	.globl	_ZN7rocprim17ROCPRIM_400000_NS6detail17trampoline_kernelINS0_14default_configENS1_22reduce_config_selectorIfEEZNS1_11reduce_implILb1ES3_PfS7_fN6thrust23THRUST_200600_302600_NS4plusIfEEEE10hipError_tPvRmT1_T2_T3_mT4_P12ihipStream_tbEUlT_E0_NS1_11comp_targetILNS1_3genE9ELNS1_11target_archE1100ELNS1_3gpuE3ELNS1_3repE0EEENS1_30default_config_static_selectorELNS0_4arch9wavefront6targetE1EEEvSF_
	.p2align	8
	.type	_ZN7rocprim17ROCPRIM_400000_NS6detail17trampoline_kernelINS0_14default_configENS1_22reduce_config_selectorIfEEZNS1_11reduce_implILb1ES3_PfS7_fN6thrust23THRUST_200600_302600_NS4plusIfEEEE10hipError_tPvRmT1_T2_T3_mT4_P12ihipStream_tbEUlT_E0_NS1_11comp_targetILNS1_3genE9ELNS1_11target_archE1100ELNS1_3gpuE3ELNS1_3repE0EEENS1_30default_config_static_selectorELNS0_4arch9wavefront6targetE1EEEvSF_,@function
_ZN7rocprim17ROCPRIM_400000_NS6detail17trampoline_kernelINS0_14default_configENS1_22reduce_config_selectorIfEEZNS1_11reduce_implILb1ES3_PfS7_fN6thrust23THRUST_200600_302600_NS4plusIfEEEE10hipError_tPvRmT1_T2_T3_mT4_P12ihipStream_tbEUlT_E0_NS1_11comp_targetILNS1_3genE9ELNS1_11target_archE1100ELNS1_3gpuE3ELNS1_3repE0EEENS1_30default_config_static_selectorELNS0_4arch9wavefront6targetE1EEEvSF_: ; @_ZN7rocprim17ROCPRIM_400000_NS6detail17trampoline_kernelINS0_14default_configENS1_22reduce_config_selectorIfEEZNS1_11reduce_implILb1ES3_PfS7_fN6thrust23THRUST_200600_302600_NS4plusIfEEEE10hipError_tPvRmT1_T2_T3_mT4_P12ihipStream_tbEUlT_E0_NS1_11comp_targetILNS1_3genE9ELNS1_11target_archE1100ELNS1_3gpuE3ELNS1_3repE0EEENS1_30default_config_static_selectorELNS0_4arch9wavefront6targetE1EEEvSF_
; %bb.0:
	.section	.rodata,"a",@progbits
	.p2align	6, 0x0
	.amdhsa_kernel _ZN7rocprim17ROCPRIM_400000_NS6detail17trampoline_kernelINS0_14default_configENS1_22reduce_config_selectorIfEEZNS1_11reduce_implILb1ES3_PfS7_fN6thrust23THRUST_200600_302600_NS4plusIfEEEE10hipError_tPvRmT1_T2_T3_mT4_P12ihipStream_tbEUlT_E0_NS1_11comp_targetILNS1_3genE9ELNS1_11target_archE1100ELNS1_3gpuE3ELNS1_3repE0EEENS1_30default_config_static_selectorELNS0_4arch9wavefront6targetE1EEEvSF_
		.amdhsa_group_segment_fixed_size 0
		.amdhsa_private_segment_fixed_size 0
		.amdhsa_kernarg_size 56
		.amdhsa_user_sgpr_count 6
		.amdhsa_user_sgpr_private_segment_buffer 1
		.amdhsa_user_sgpr_dispatch_ptr 0
		.amdhsa_user_sgpr_queue_ptr 0
		.amdhsa_user_sgpr_kernarg_segment_ptr 1
		.amdhsa_user_sgpr_dispatch_id 0
		.amdhsa_user_sgpr_flat_scratch_init 0
		.amdhsa_user_sgpr_private_segment_size 0
		.amdhsa_uses_dynamic_stack 0
		.amdhsa_system_sgpr_private_segment_wavefront_offset 0
		.amdhsa_system_sgpr_workgroup_id_x 1
		.amdhsa_system_sgpr_workgroup_id_y 0
		.amdhsa_system_sgpr_workgroup_id_z 0
		.amdhsa_system_sgpr_workgroup_info 0
		.amdhsa_system_vgpr_workitem_id 0
		.amdhsa_next_free_vgpr 1
		.amdhsa_next_free_sgpr 0
		.amdhsa_reserve_vcc 0
		.amdhsa_reserve_flat_scratch 0
		.amdhsa_float_round_mode_32 0
		.amdhsa_float_round_mode_16_64 0
		.amdhsa_float_denorm_mode_32 3
		.amdhsa_float_denorm_mode_16_64 3
		.amdhsa_dx10_clamp 1
		.amdhsa_ieee_mode 1
		.amdhsa_fp16_overflow 0
		.amdhsa_exception_fp_ieee_invalid_op 0
		.amdhsa_exception_fp_denorm_src 0
		.amdhsa_exception_fp_ieee_div_zero 0
		.amdhsa_exception_fp_ieee_overflow 0
		.amdhsa_exception_fp_ieee_underflow 0
		.amdhsa_exception_fp_ieee_inexact 0
		.amdhsa_exception_int_div_zero 0
	.end_amdhsa_kernel
	.section	.text._ZN7rocprim17ROCPRIM_400000_NS6detail17trampoline_kernelINS0_14default_configENS1_22reduce_config_selectorIfEEZNS1_11reduce_implILb1ES3_PfS7_fN6thrust23THRUST_200600_302600_NS4plusIfEEEE10hipError_tPvRmT1_T2_T3_mT4_P12ihipStream_tbEUlT_E0_NS1_11comp_targetILNS1_3genE9ELNS1_11target_archE1100ELNS1_3gpuE3ELNS1_3repE0EEENS1_30default_config_static_selectorELNS0_4arch9wavefront6targetE1EEEvSF_,"axG",@progbits,_ZN7rocprim17ROCPRIM_400000_NS6detail17trampoline_kernelINS0_14default_configENS1_22reduce_config_selectorIfEEZNS1_11reduce_implILb1ES3_PfS7_fN6thrust23THRUST_200600_302600_NS4plusIfEEEE10hipError_tPvRmT1_T2_T3_mT4_P12ihipStream_tbEUlT_E0_NS1_11comp_targetILNS1_3genE9ELNS1_11target_archE1100ELNS1_3gpuE3ELNS1_3repE0EEENS1_30default_config_static_selectorELNS0_4arch9wavefront6targetE1EEEvSF_,comdat
.Lfunc_end7:
	.size	_ZN7rocprim17ROCPRIM_400000_NS6detail17trampoline_kernelINS0_14default_configENS1_22reduce_config_selectorIfEEZNS1_11reduce_implILb1ES3_PfS7_fN6thrust23THRUST_200600_302600_NS4plusIfEEEE10hipError_tPvRmT1_T2_T3_mT4_P12ihipStream_tbEUlT_E0_NS1_11comp_targetILNS1_3genE9ELNS1_11target_archE1100ELNS1_3gpuE3ELNS1_3repE0EEENS1_30default_config_static_selectorELNS0_4arch9wavefront6targetE1EEEvSF_, .Lfunc_end7-_ZN7rocprim17ROCPRIM_400000_NS6detail17trampoline_kernelINS0_14default_configENS1_22reduce_config_selectorIfEEZNS1_11reduce_implILb1ES3_PfS7_fN6thrust23THRUST_200600_302600_NS4plusIfEEEE10hipError_tPvRmT1_T2_T3_mT4_P12ihipStream_tbEUlT_E0_NS1_11comp_targetILNS1_3genE9ELNS1_11target_archE1100ELNS1_3gpuE3ELNS1_3repE0EEENS1_30default_config_static_selectorELNS0_4arch9wavefront6targetE1EEEvSF_
                                        ; -- End function
	.set _ZN7rocprim17ROCPRIM_400000_NS6detail17trampoline_kernelINS0_14default_configENS1_22reduce_config_selectorIfEEZNS1_11reduce_implILb1ES3_PfS7_fN6thrust23THRUST_200600_302600_NS4plusIfEEEE10hipError_tPvRmT1_T2_T3_mT4_P12ihipStream_tbEUlT_E0_NS1_11comp_targetILNS1_3genE9ELNS1_11target_archE1100ELNS1_3gpuE3ELNS1_3repE0EEENS1_30default_config_static_selectorELNS0_4arch9wavefront6targetE1EEEvSF_.num_vgpr, 0
	.set _ZN7rocprim17ROCPRIM_400000_NS6detail17trampoline_kernelINS0_14default_configENS1_22reduce_config_selectorIfEEZNS1_11reduce_implILb1ES3_PfS7_fN6thrust23THRUST_200600_302600_NS4plusIfEEEE10hipError_tPvRmT1_T2_T3_mT4_P12ihipStream_tbEUlT_E0_NS1_11comp_targetILNS1_3genE9ELNS1_11target_archE1100ELNS1_3gpuE3ELNS1_3repE0EEENS1_30default_config_static_selectorELNS0_4arch9wavefront6targetE1EEEvSF_.num_agpr, 0
	.set _ZN7rocprim17ROCPRIM_400000_NS6detail17trampoline_kernelINS0_14default_configENS1_22reduce_config_selectorIfEEZNS1_11reduce_implILb1ES3_PfS7_fN6thrust23THRUST_200600_302600_NS4plusIfEEEE10hipError_tPvRmT1_T2_T3_mT4_P12ihipStream_tbEUlT_E0_NS1_11comp_targetILNS1_3genE9ELNS1_11target_archE1100ELNS1_3gpuE3ELNS1_3repE0EEENS1_30default_config_static_selectorELNS0_4arch9wavefront6targetE1EEEvSF_.numbered_sgpr, 0
	.set _ZN7rocprim17ROCPRIM_400000_NS6detail17trampoline_kernelINS0_14default_configENS1_22reduce_config_selectorIfEEZNS1_11reduce_implILb1ES3_PfS7_fN6thrust23THRUST_200600_302600_NS4plusIfEEEE10hipError_tPvRmT1_T2_T3_mT4_P12ihipStream_tbEUlT_E0_NS1_11comp_targetILNS1_3genE9ELNS1_11target_archE1100ELNS1_3gpuE3ELNS1_3repE0EEENS1_30default_config_static_selectorELNS0_4arch9wavefront6targetE1EEEvSF_.num_named_barrier, 0
	.set _ZN7rocprim17ROCPRIM_400000_NS6detail17trampoline_kernelINS0_14default_configENS1_22reduce_config_selectorIfEEZNS1_11reduce_implILb1ES3_PfS7_fN6thrust23THRUST_200600_302600_NS4plusIfEEEE10hipError_tPvRmT1_T2_T3_mT4_P12ihipStream_tbEUlT_E0_NS1_11comp_targetILNS1_3genE9ELNS1_11target_archE1100ELNS1_3gpuE3ELNS1_3repE0EEENS1_30default_config_static_selectorELNS0_4arch9wavefront6targetE1EEEvSF_.private_seg_size, 0
	.set _ZN7rocprim17ROCPRIM_400000_NS6detail17trampoline_kernelINS0_14default_configENS1_22reduce_config_selectorIfEEZNS1_11reduce_implILb1ES3_PfS7_fN6thrust23THRUST_200600_302600_NS4plusIfEEEE10hipError_tPvRmT1_T2_T3_mT4_P12ihipStream_tbEUlT_E0_NS1_11comp_targetILNS1_3genE9ELNS1_11target_archE1100ELNS1_3gpuE3ELNS1_3repE0EEENS1_30default_config_static_selectorELNS0_4arch9wavefront6targetE1EEEvSF_.uses_vcc, 0
	.set _ZN7rocprim17ROCPRIM_400000_NS6detail17trampoline_kernelINS0_14default_configENS1_22reduce_config_selectorIfEEZNS1_11reduce_implILb1ES3_PfS7_fN6thrust23THRUST_200600_302600_NS4plusIfEEEE10hipError_tPvRmT1_T2_T3_mT4_P12ihipStream_tbEUlT_E0_NS1_11comp_targetILNS1_3genE9ELNS1_11target_archE1100ELNS1_3gpuE3ELNS1_3repE0EEENS1_30default_config_static_selectorELNS0_4arch9wavefront6targetE1EEEvSF_.uses_flat_scratch, 0
	.set _ZN7rocprim17ROCPRIM_400000_NS6detail17trampoline_kernelINS0_14default_configENS1_22reduce_config_selectorIfEEZNS1_11reduce_implILb1ES3_PfS7_fN6thrust23THRUST_200600_302600_NS4plusIfEEEE10hipError_tPvRmT1_T2_T3_mT4_P12ihipStream_tbEUlT_E0_NS1_11comp_targetILNS1_3genE9ELNS1_11target_archE1100ELNS1_3gpuE3ELNS1_3repE0EEENS1_30default_config_static_selectorELNS0_4arch9wavefront6targetE1EEEvSF_.has_dyn_sized_stack, 0
	.set _ZN7rocprim17ROCPRIM_400000_NS6detail17trampoline_kernelINS0_14default_configENS1_22reduce_config_selectorIfEEZNS1_11reduce_implILb1ES3_PfS7_fN6thrust23THRUST_200600_302600_NS4plusIfEEEE10hipError_tPvRmT1_T2_T3_mT4_P12ihipStream_tbEUlT_E0_NS1_11comp_targetILNS1_3genE9ELNS1_11target_archE1100ELNS1_3gpuE3ELNS1_3repE0EEENS1_30default_config_static_selectorELNS0_4arch9wavefront6targetE1EEEvSF_.has_recursion, 0
	.set _ZN7rocprim17ROCPRIM_400000_NS6detail17trampoline_kernelINS0_14default_configENS1_22reduce_config_selectorIfEEZNS1_11reduce_implILb1ES3_PfS7_fN6thrust23THRUST_200600_302600_NS4plusIfEEEE10hipError_tPvRmT1_T2_T3_mT4_P12ihipStream_tbEUlT_E0_NS1_11comp_targetILNS1_3genE9ELNS1_11target_archE1100ELNS1_3gpuE3ELNS1_3repE0EEENS1_30default_config_static_selectorELNS0_4arch9wavefront6targetE1EEEvSF_.has_indirect_call, 0
	.section	.AMDGPU.csdata,"",@progbits
; Kernel info:
; codeLenInByte = 0
; TotalNumSgprs: 4
; NumVgprs: 0
; ScratchSize: 0
; MemoryBound: 0
; FloatMode: 240
; IeeeMode: 1
; LDSByteSize: 0 bytes/workgroup (compile time only)
; SGPRBlocks: 0
; VGPRBlocks: 0
; NumSGPRsForWavesPerEU: 4
; NumVGPRsForWavesPerEU: 1
; Occupancy: 10
; WaveLimiterHint : 0
; COMPUTE_PGM_RSRC2:SCRATCH_EN: 0
; COMPUTE_PGM_RSRC2:USER_SGPR: 6
; COMPUTE_PGM_RSRC2:TRAP_HANDLER: 0
; COMPUTE_PGM_RSRC2:TGID_X_EN: 1
; COMPUTE_PGM_RSRC2:TGID_Y_EN: 0
; COMPUTE_PGM_RSRC2:TGID_Z_EN: 0
; COMPUTE_PGM_RSRC2:TIDIG_COMP_CNT: 0
	.section	.text._ZN7rocprim17ROCPRIM_400000_NS6detail17trampoline_kernelINS0_14default_configENS1_22reduce_config_selectorIfEEZNS1_11reduce_implILb1ES3_PfS7_fN6thrust23THRUST_200600_302600_NS4plusIfEEEE10hipError_tPvRmT1_T2_T3_mT4_P12ihipStream_tbEUlT_E0_NS1_11comp_targetILNS1_3genE8ELNS1_11target_archE1030ELNS1_3gpuE2ELNS1_3repE0EEENS1_30default_config_static_selectorELNS0_4arch9wavefront6targetE1EEEvSF_,"axG",@progbits,_ZN7rocprim17ROCPRIM_400000_NS6detail17trampoline_kernelINS0_14default_configENS1_22reduce_config_selectorIfEEZNS1_11reduce_implILb1ES3_PfS7_fN6thrust23THRUST_200600_302600_NS4plusIfEEEE10hipError_tPvRmT1_T2_T3_mT4_P12ihipStream_tbEUlT_E0_NS1_11comp_targetILNS1_3genE8ELNS1_11target_archE1030ELNS1_3gpuE2ELNS1_3repE0EEENS1_30default_config_static_selectorELNS0_4arch9wavefront6targetE1EEEvSF_,comdat
	.protected	_ZN7rocprim17ROCPRIM_400000_NS6detail17trampoline_kernelINS0_14default_configENS1_22reduce_config_selectorIfEEZNS1_11reduce_implILb1ES3_PfS7_fN6thrust23THRUST_200600_302600_NS4plusIfEEEE10hipError_tPvRmT1_T2_T3_mT4_P12ihipStream_tbEUlT_E0_NS1_11comp_targetILNS1_3genE8ELNS1_11target_archE1030ELNS1_3gpuE2ELNS1_3repE0EEENS1_30default_config_static_selectorELNS0_4arch9wavefront6targetE1EEEvSF_ ; -- Begin function _ZN7rocprim17ROCPRIM_400000_NS6detail17trampoline_kernelINS0_14default_configENS1_22reduce_config_selectorIfEEZNS1_11reduce_implILb1ES3_PfS7_fN6thrust23THRUST_200600_302600_NS4plusIfEEEE10hipError_tPvRmT1_T2_T3_mT4_P12ihipStream_tbEUlT_E0_NS1_11comp_targetILNS1_3genE8ELNS1_11target_archE1030ELNS1_3gpuE2ELNS1_3repE0EEENS1_30default_config_static_selectorELNS0_4arch9wavefront6targetE1EEEvSF_
	.globl	_ZN7rocprim17ROCPRIM_400000_NS6detail17trampoline_kernelINS0_14default_configENS1_22reduce_config_selectorIfEEZNS1_11reduce_implILb1ES3_PfS7_fN6thrust23THRUST_200600_302600_NS4plusIfEEEE10hipError_tPvRmT1_T2_T3_mT4_P12ihipStream_tbEUlT_E0_NS1_11comp_targetILNS1_3genE8ELNS1_11target_archE1030ELNS1_3gpuE2ELNS1_3repE0EEENS1_30default_config_static_selectorELNS0_4arch9wavefront6targetE1EEEvSF_
	.p2align	8
	.type	_ZN7rocprim17ROCPRIM_400000_NS6detail17trampoline_kernelINS0_14default_configENS1_22reduce_config_selectorIfEEZNS1_11reduce_implILb1ES3_PfS7_fN6thrust23THRUST_200600_302600_NS4plusIfEEEE10hipError_tPvRmT1_T2_T3_mT4_P12ihipStream_tbEUlT_E0_NS1_11comp_targetILNS1_3genE8ELNS1_11target_archE1030ELNS1_3gpuE2ELNS1_3repE0EEENS1_30default_config_static_selectorELNS0_4arch9wavefront6targetE1EEEvSF_,@function
_ZN7rocprim17ROCPRIM_400000_NS6detail17trampoline_kernelINS0_14default_configENS1_22reduce_config_selectorIfEEZNS1_11reduce_implILb1ES3_PfS7_fN6thrust23THRUST_200600_302600_NS4plusIfEEEE10hipError_tPvRmT1_T2_T3_mT4_P12ihipStream_tbEUlT_E0_NS1_11comp_targetILNS1_3genE8ELNS1_11target_archE1030ELNS1_3gpuE2ELNS1_3repE0EEENS1_30default_config_static_selectorELNS0_4arch9wavefront6targetE1EEEvSF_: ; @_ZN7rocprim17ROCPRIM_400000_NS6detail17trampoline_kernelINS0_14default_configENS1_22reduce_config_selectorIfEEZNS1_11reduce_implILb1ES3_PfS7_fN6thrust23THRUST_200600_302600_NS4plusIfEEEE10hipError_tPvRmT1_T2_T3_mT4_P12ihipStream_tbEUlT_E0_NS1_11comp_targetILNS1_3genE8ELNS1_11target_archE1030ELNS1_3gpuE2ELNS1_3repE0EEENS1_30default_config_static_selectorELNS0_4arch9wavefront6targetE1EEEvSF_
; %bb.0:
	.section	.rodata,"a",@progbits
	.p2align	6, 0x0
	.amdhsa_kernel _ZN7rocprim17ROCPRIM_400000_NS6detail17trampoline_kernelINS0_14default_configENS1_22reduce_config_selectorIfEEZNS1_11reduce_implILb1ES3_PfS7_fN6thrust23THRUST_200600_302600_NS4plusIfEEEE10hipError_tPvRmT1_T2_T3_mT4_P12ihipStream_tbEUlT_E0_NS1_11comp_targetILNS1_3genE8ELNS1_11target_archE1030ELNS1_3gpuE2ELNS1_3repE0EEENS1_30default_config_static_selectorELNS0_4arch9wavefront6targetE1EEEvSF_
		.amdhsa_group_segment_fixed_size 0
		.amdhsa_private_segment_fixed_size 0
		.amdhsa_kernarg_size 56
		.amdhsa_user_sgpr_count 6
		.amdhsa_user_sgpr_private_segment_buffer 1
		.amdhsa_user_sgpr_dispatch_ptr 0
		.amdhsa_user_sgpr_queue_ptr 0
		.amdhsa_user_sgpr_kernarg_segment_ptr 1
		.amdhsa_user_sgpr_dispatch_id 0
		.amdhsa_user_sgpr_flat_scratch_init 0
		.amdhsa_user_sgpr_private_segment_size 0
		.amdhsa_uses_dynamic_stack 0
		.amdhsa_system_sgpr_private_segment_wavefront_offset 0
		.amdhsa_system_sgpr_workgroup_id_x 1
		.amdhsa_system_sgpr_workgroup_id_y 0
		.amdhsa_system_sgpr_workgroup_id_z 0
		.amdhsa_system_sgpr_workgroup_info 0
		.amdhsa_system_vgpr_workitem_id 0
		.amdhsa_next_free_vgpr 1
		.amdhsa_next_free_sgpr 0
		.amdhsa_reserve_vcc 0
		.amdhsa_reserve_flat_scratch 0
		.amdhsa_float_round_mode_32 0
		.amdhsa_float_round_mode_16_64 0
		.amdhsa_float_denorm_mode_32 3
		.amdhsa_float_denorm_mode_16_64 3
		.amdhsa_dx10_clamp 1
		.amdhsa_ieee_mode 1
		.amdhsa_fp16_overflow 0
		.amdhsa_exception_fp_ieee_invalid_op 0
		.amdhsa_exception_fp_denorm_src 0
		.amdhsa_exception_fp_ieee_div_zero 0
		.amdhsa_exception_fp_ieee_overflow 0
		.amdhsa_exception_fp_ieee_underflow 0
		.amdhsa_exception_fp_ieee_inexact 0
		.amdhsa_exception_int_div_zero 0
	.end_amdhsa_kernel
	.section	.text._ZN7rocprim17ROCPRIM_400000_NS6detail17trampoline_kernelINS0_14default_configENS1_22reduce_config_selectorIfEEZNS1_11reduce_implILb1ES3_PfS7_fN6thrust23THRUST_200600_302600_NS4plusIfEEEE10hipError_tPvRmT1_T2_T3_mT4_P12ihipStream_tbEUlT_E0_NS1_11comp_targetILNS1_3genE8ELNS1_11target_archE1030ELNS1_3gpuE2ELNS1_3repE0EEENS1_30default_config_static_selectorELNS0_4arch9wavefront6targetE1EEEvSF_,"axG",@progbits,_ZN7rocprim17ROCPRIM_400000_NS6detail17trampoline_kernelINS0_14default_configENS1_22reduce_config_selectorIfEEZNS1_11reduce_implILb1ES3_PfS7_fN6thrust23THRUST_200600_302600_NS4plusIfEEEE10hipError_tPvRmT1_T2_T3_mT4_P12ihipStream_tbEUlT_E0_NS1_11comp_targetILNS1_3genE8ELNS1_11target_archE1030ELNS1_3gpuE2ELNS1_3repE0EEENS1_30default_config_static_selectorELNS0_4arch9wavefront6targetE1EEEvSF_,comdat
.Lfunc_end8:
	.size	_ZN7rocprim17ROCPRIM_400000_NS6detail17trampoline_kernelINS0_14default_configENS1_22reduce_config_selectorIfEEZNS1_11reduce_implILb1ES3_PfS7_fN6thrust23THRUST_200600_302600_NS4plusIfEEEE10hipError_tPvRmT1_T2_T3_mT4_P12ihipStream_tbEUlT_E0_NS1_11comp_targetILNS1_3genE8ELNS1_11target_archE1030ELNS1_3gpuE2ELNS1_3repE0EEENS1_30default_config_static_selectorELNS0_4arch9wavefront6targetE1EEEvSF_, .Lfunc_end8-_ZN7rocprim17ROCPRIM_400000_NS6detail17trampoline_kernelINS0_14default_configENS1_22reduce_config_selectorIfEEZNS1_11reduce_implILb1ES3_PfS7_fN6thrust23THRUST_200600_302600_NS4plusIfEEEE10hipError_tPvRmT1_T2_T3_mT4_P12ihipStream_tbEUlT_E0_NS1_11comp_targetILNS1_3genE8ELNS1_11target_archE1030ELNS1_3gpuE2ELNS1_3repE0EEENS1_30default_config_static_selectorELNS0_4arch9wavefront6targetE1EEEvSF_
                                        ; -- End function
	.set _ZN7rocprim17ROCPRIM_400000_NS6detail17trampoline_kernelINS0_14default_configENS1_22reduce_config_selectorIfEEZNS1_11reduce_implILb1ES3_PfS7_fN6thrust23THRUST_200600_302600_NS4plusIfEEEE10hipError_tPvRmT1_T2_T3_mT4_P12ihipStream_tbEUlT_E0_NS1_11comp_targetILNS1_3genE8ELNS1_11target_archE1030ELNS1_3gpuE2ELNS1_3repE0EEENS1_30default_config_static_selectorELNS0_4arch9wavefront6targetE1EEEvSF_.num_vgpr, 0
	.set _ZN7rocprim17ROCPRIM_400000_NS6detail17trampoline_kernelINS0_14default_configENS1_22reduce_config_selectorIfEEZNS1_11reduce_implILb1ES3_PfS7_fN6thrust23THRUST_200600_302600_NS4plusIfEEEE10hipError_tPvRmT1_T2_T3_mT4_P12ihipStream_tbEUlT_E0_NS1_11comp_targetILNS1_3genE8ELNS1_11target_archE1030ELNS1_3gpuE2ELNS1_3repE0EEENS1_30default_config_static_selectorELNS0_4arch9wavefront6targetE1EEEvSF_.num_agpr, 0
	.set _ZN7rocprim17ROCPRIM_400000_NS6detail17trampoline_kernelINS0_14default_configENS1_22reduce_config_selectorIfEEZNS1_11reduce_implILb1ES3_PfS7_fN6thrust23THRUST_200600_302600_NS4plusIfEEEE10hipError_tPvRmT1_T2_T3_mT4_P12ihipStream_tbEUlT_E0_NS1_11comp_targetILNS1_3genE8ELNS1_11target_archE1030ELNS1_3gpuE2ELNS1_3repE0EEENS1_30default_config_static_selectorELNS0_4arch9wavefront6targetE1EEEvSF_.numbered_sgpr, 0
	.set _ZN7rocprim17ROCPRIM_400000_NS6detail17trampoline_kernelINS0_14default_configENS1_22reduce_config_selectorIfEEZNS1_11reduce_implILb1ES3_PfS7_fN6thrust23THRUST_200600_302600_NS4plusIfEEEE10hipError_tPvRmT1_T2_T3_mT4_P12ihipStream_tbEUlT_E0_NS1_11comp_targetILNS1_3genE8ELNS1_11target_archE1030ELNS1_3gpuE2ELNS1_3repE0EEENS1_30default_config_static_selectorELNS0_4arch9wavefront6targetE1EEEvSF_.num_named_barrier, 0
	.set _ZN7rocprim17ROCPRIM_400000_NS6detail17trampoline_kernelINS0_14default_configENS1_22reduce_config_selectorIfEEZNS1_11reduce_implILb1ES3_PfS7_fN6thrust23THRUST_200600_302600_NS4plusIfEEEE10hipError_tPvRmT1_T2_T3_mT4_P12ihipStream_tbEUlT_E0_NS1_11comp_targetILNS1_3genE8ELNS1_11target_archE1030ELNS1_3gpuE2ELNS1_3repE0EEENS1_30default_config_static_selectorELNS0_4arch9wavefront6targetE1EEEvSF_.private_seg_size, 0
	.set _ZN7rocprim17ROCPRIM_400000_NS6detail17trampoline_kernelINS0_14default_configENS1_22reduce_config_selectorIfEEZNS1_11reduce_implILb1ES3_PfS7_fN6thrust23THRUST_200600_302600_NS4plusIfEEEE10hipError_tPvRmT1_T2_T3_mT4_P12ihipStream_tbEUlT_E0_NS1_11comp_targetILNS1_3genE8ELNS1_11target_archE1030ELNS1_3gpuE2ELNS1_3repE0EEENS1_30default_config_static_selectorELNS0_4arch9wavefront6targetE1EEEvSF_.uses_vcc, 0
	.set _ZN7rocprim17ROCPRIM_400000_NS6detail17trampoline_kernelINS0_14default_configENS1_22reduce_config_selectorIfEEZNS1_11reduce_implILb1ES3_PfS7_fN6thrust23THRUST_200600_302600_NS4plusIfEEEE10hipError_tPvRmT1_T2_T3_mT4_P12ihipStream_tbEUlT_E0_NS1_11comp_targetILNS1_3genE8ELNS1_11target_archE1030ELNS1_3gpuE2ELNS1_3repE0EEENS1_30default_config_static_selectorELNS0_4arch9wavefront6targetE1EEEvSF_.uses_flat_scratch, 0
	.set _ZN7rocprim17ROCPRIM_400000_NS6detail17trampoline_kernelINS0_14default_configENS1_22reduce_config_selectorIfEEZNS1_11reduce_implILb1ES3_PfS7_fN6thrust23THRUST_200600_302600_NS4plusIfEEEE10hipError_tPvRmT1_T2_T3_mT4_P12ihipStream_tbEUlT_E0_NS1_11comp_targetILNS1_3genE8ELNS1_11target_archE1030ELNS1_3gpuE2ELNS1_3repE0EEENS1_30default_config_static_selectorELNS0_4arch9wavefront6targetE1EEEvSF_.has_dyn_sized_stack, 0
	.set _ZN7rocprim17ROCPRIM_400000_NS6detail17trampoline_kernelINS0_14default_configENS1_22reduce_config_selectorIfEEZNS1_11reduce_implILb1ES3_PfS7_fN6thrust23THRUST_200600_302600_NS4plusIfEEEE10hipError_tPvRmT1_T2_T3_mT4_P12ihipStream_tbEUlT_E0_NS1_11comp_targetILNS1_3genE8ELNS1_11target_archE1030ELNS1_3gpuE2ELNS1_3repE0EEENS1_30default_config_static_selectorELNS0_4arch9wavefront6targetE1EEEvSF_.has_recursion, 0
	.set _ZN7rocprim17ROCPRIM_400000_NS6detail17trampoline_kernelINS0_14default_configENS1_22reduce_config_selectorIfEEZNS1_11reduce_implILb1ES3_PfS7_fN6thrust23THRUST_200600_302600_NS4plusIfEEEE10hipError_tPvRmT1_T2_T3_mT4_P12ihipStream_tbEUlT_E0_NS1_11comp_targetILNS1_3genE8ELNS1_11target_archE1030ELNS1_3gpuE2ELNS1_3repE0EEENS1_30default_config_static_selectorELNS0_4arch9wavefront6targetE1EEEvSF_.has_indirect_call, 0
	.section	.AMDGPU.csdata,"",@progbits
; Kernel info:
; codeLenInByte = 0
; TotalNumSgprs: 4
; NumVgprs: 0
; ScratchSize: 0
; MemoryBound: 0
; FloatMode: 240
; IeeeMode: 1
; LDSByteSize: 0 bytes/workgroup (compile time only)
; SGPRBlocks: 0
; VGPRBlocks: 0
; NumSGPRsForWavesPerEU: 4
; NumVGPRsForWavesPerEU: 1
; Occupancy: 10
; WaveLimiterHint : 0
; COMPUTE_PGM_RSRC2:SCRATCH_EN: 0
; COMPUTE_PGM_RSRC2:USER_SGPR: 6
; COMPUTE_PGM_RSRC2:TRAP_HANDLER: 0
; COMPUTE_PGM_RSRC2:TGID_X_EN: 1
; COMPUTE_PGM_RSRC2:TGID_Y_EN: 0
; COMPUTE_PGM_RSRC2:TGID_Z_EN: 0
; COMPUTE_PGM_RSRC2:TIDIG_COMP_CNT: 0
	.section	.text._ZN7rocprim17ROCPRIM_400000_NS6detail17trampoline_kernelINS0_14default_configENS1_22reduce_config_selectorIfEEZNS1_11reduce_implILb1ES3_PfS7_fN6thrust23THRUST_200600_302600_NS4plusIfEEEE10hipError_tPvRmT1_T2_T3_mT4_P12ihipStream_tbEUlT_E1_NS1_11comp_targetILNS1_3genE0ELNS1_11target_archE4294967295ELNS1_3gpuE0ELNS1_3repE0EEENS1_30default_config_static_selectorELNS0_4arch9wavefront6targetE1EEEvSF_,"axG",@progbits,_ZN7rocprim17ROCPRIM_400000_NS6detail17trampoline_kernelINS0_14default_configENS1_22reduce_config_selectorIfEEZNS1_11reduce_implILb1ES3_PfS7_fN6thrust23THRUST_200600_302600_NS4plusIfEEEE10hipError_tPvRmT1_T2_T3_mT4_P12ihipStream_tbEUlT_E1_NS1_11comp_targetILNS1_3genE0ELNS1_11target_archE4294967295ELNS1_3gpuE0ELNS1_3repE0EEENS1_30default_config_static_selectorELNS0_4arch9wavefront6targetE1EEEvSF_,comdat
	.protected	_ZN7rocprim17ROCPRIM_400000_NS6detail17trampoline_kernelINS0_14default_configENS1_22reduce_config_selectorIfEEZNS1_11reduce_implILb1ES3_PfS7_fN6thrust23THRUST_200600_302600_NS4plusIfEEEE10hipError_tPvRmT1_T2_T3_mT4_P12ihipStream_tbEUlT_E1_NS1_11comp_targetILNS1_3genE0ELNS1_11target_archE4294967295ELNS1_3gpuE0ELNS1_3repE0EEENS1_30default_config_static_selectorELNS0_4arch9wavefront6targetE1EEEvSF_ ; -- Begin function _ZN7rocprim17ROCPRIM_400000_NS6detail17trampoline_kernelINS0_14default_configENS1_22reduce_config_selectorIfEEZNS1_11reduce_implILb1ES3_PfS7_fN6thrust23THRUST_200600_302600_NS4plusIfEEEE10hipError_tPvRmT1_T2_T3_mT4_P12ihipStream_tbEUlT_E1_NS1_11comp_targetILNS1_3genE0ELNS1_11target_archE4294967295ELNS1_3gpuE0ELNS1_3repE0EEENS1_30default_config_static_selectorELNS0_4arch9wavefront6targetE1EEEvSF_
	.globl	_ZN7rocprim17ROCPRIM_400000_NS6detail17trampoline_kernelINS0_14default_configENS1_22reduce_config_selectorIfEEZNS1_11reduce_implILb1ES3_PfS7_fN6thrust23THRUST_200600_302600_NS4plusIfEEEE10hipError_tPvRmT1_T2_T3_mT4_P12ihipStream_tbEUlT_E1_NS1_11comp_targetILNS1_3genE0ELNS1_11target_archE4294967295ELNS1_3gpuE0ELNS1_3repE0EEENS1_30default_config_static_selectorELNS0_4arch9wavefront6targetE1EEEvSF_
	.p2align	8
	.type	_ZN7rocprim17ROCPRIM_400000_NS6detail17trampoline_kernelINS0_14default_configENS1_22reduce_config_selectorIfEEZNS1_11reduce_implILb1ES3_PfS7_fN6thrust23THRUST_200600_302600_NS4plusIfEEEE10hipError_tPvRmT1_T2_T3_mT4_P12ihipStream_tbEUlT_E1_NS1_11comp_targetILNS1_3genE0ELNS1_11target_archE4294967295ELNS1_3gpuE0ELNS1_3repE0EEENS1_30default_config_static_selectorELNS0_4arch9wavefront6targetE1EEEvSF_,@function
_ZN7rocprim17ROCPRIM_400000_NS6detail17trampoline_kernelINS0_14default_configENS1_22reduce_config_selectorIfEEZNS1_11reduce_implILb1ES3_PfS7_fN6thrust23THRUST_200600_302600_NS4plusIfEEEE10hipError_tPvRmT1_T2_T3_mT4_P12ihipStream_tbEUlT_E1_NS1_11comp_targetILNS1_3genE0ELNS1_11target_archE4294967295ELNS1_3gpuE0ELNS1_3repE0EEENS1_30default_config_static_selectorELNS0_4arch9wavefront6targetE1EEEvSF_: ; @_ZN7rocprim17ROCPRIM_400000_NS6detail17trampoline_kernelINS0_14default_configENS1_22reduce_config_selectorIfEEZNS1_11reduce_implILb1ES3_PfS7_fN6thrust23THRUST_200600_302600_NS4plusIfEEEE10hipError_tPvRmT1_T2_T3_mT4_P12ihipStream_tbEUlT_E1_NS1_11comp_targetILNS1_3genE0ELNS1_11target_archE4294967295ELNS1_3gpuE0ELNS1_3repE0EEENS1_30default_config_static_selectorELNS0_4arch9wavefront6targetE1EEEvSF_
; %bb.0:
	.section	.rodata,"a",@progbits
	.p2align	6, 0x0
	.amdhsa_kernel _ZN7rocprim17ROCPRIM_400000_NS6detail17trampoline_kernelINS0_14default_configENS1_22reduce_config_selectorIfEEZNS1_11reduce_implILb1ES3_PfS7_fN6thrust23THRUST_200600_302600_NS4plusIfEEEE10hipError_tPvRmT1_T2_T3_mT4_P12ihipStream_tbEUlT_E1_NS1_11comp_targetILNS1_3genE0ELNS1_11target_archE4294967295ELNS1_3gpuE0ELNS1_3repE0EEENS1_30default_config_static_selectorELNS0_4arch9wavefront6targetE1EEEvSF_
		.amdhsa_group_segment_fixed_size 0
		.amdhsa_private_segment_fixed_size 0
		.amdhsa_kernarg_size 40
		.amdhsa_user_sgpr_count 6
		.amdhsa_user_sgpr_private_segment_buffer 1
		.amdhsa_user_sgpr_dispatch_ptr 0
		.amdhsa_user_sgpr_queue_ptr 0
		.amdhsa_user_sgpr_kernarg_segment_ptr 1
		.amdhsa_user_sgpr_dispatch_id 0
		.amdhsa_user_sgpr_flat_scratch_init 0
		.amdhsa_user_sgpr_private_segment_size 0
		.amdhsa_uses_dynamic_stack 0
		.amdhsa_system_sgpr_private_segment_wavefront_offset 0
		.amdhsa_system_sgpr_workgroup_id_x 1
		.amdhsa_system_sgpr_workgroup_id_y 0
		.amdhsa_system_sgpr_workgroup_id_z 0
		.amdhsa_system_sgpr_workgroup_info 0
		.amdhsa_system_vgpr_workitem_id 0
		.amdhsa_next_free_vgpr 1
		.amdhsa_next_free_sgpr 0
		.amdhsa_reserve_vcc 0
		.amdhsa_reserve_flat_scratch 0
		.amdhsa_float_round_mode_32 0
		.amdhsa_float_round_mode_16_64 0
		.amdhsa_float_denorm_mode_32 3
		.amdhsa_float_denorm_mode_16_64 3
		.amdhsa_dx10_clamp 1
		.amdhsa_ieee_mode 1
		.amdhsa_fp16_overflow 0
		.amdhsa_exception_fp_ieee_invalid_op 0
		.amdhsa_exception_fp_denorm_src 0
		.amdhsa_exception_fp_ieee_div_zero 0
		.amdhsa_exception_fp_ieee_overflow 0
		.amdhsa_exception_fp_ieee_underflow 0
		.amdhsa_exception_fp_ieee_inexact 0
		.amdhsa_exception_int_div_zero 0
	.end_amdhsa_kernel
	.section	.text._ZN7rocprim17ROCPRIM_400000_NS6detail17trampoline_kernelINS0_14default_configENS1_22reduce_config_selectorIfEEZNS1_11reduce_implILb1ES3_PfS7_fN6thrust23THRUST_200600_302600_NS4plusIfEEEE10hipError_tPvRmT1_T2_T3_mT4_P12ihipStream_tbEUlT_E1_NS1_11comp_targetILNS1_3genE0ELNS1_11target_archE4294967295ELNS1_3gpuE0ELNS1_3repE0EEENS1_30default_config_static_selectorELNS0_4arch9wavefront6targetE1EEEvSF_,"axG",@progbits,_ZN7rocprim17ROCPRIM_400000_NS6detail17trampoline_kernelINS0_14default_configENS1_22reduce_config_selectorIfEEZNS1_11reduce_implILb1ES3_PfS7_fN6thrust23THRUST_200600_302600_NS4plusIfEEEE10hipError_tPvRmT1_T2_T3_mT4_P12ihipStream_tbEUlT_E1_NS1_11comp_targetILNS1_3genE0ELNS1_11target_archE4294967295ELNS1_3gpuE0ELNS1_3repE0EEENS1_30default_config_static_selectorELNS0_4arch9wavefront6targetE1EEEvSF_,comdat
.Lfunc_end9:
	.size	_ZN7rocprim17ROCPRIM_400000_NS6detail17trampoline_kernelINS0_14default_configENS1_22reduce_config_selectorIfEEZNS1_11reduce_implILb1ES3_PfS7_fN6thrust23THRUST_200600_302600_NS4plusIfEEEE10hipError_tPvRmT1_T2_T3_mT4_P12ihipStream_tbEUlT_E1_NS1_11comp_targetILNS1_3genE0ELNS1_11target_archE4294967295ELNS1_3gpuE0ELNS1_3repE0EEENS1_30default_config_static_selectorELNS0_4arch9wavefront6targetE1EEEvSF_, .Lfunc_end9-_ZN7rocprim17ROCPRIM_400000_NS6detail17trampoline_kernelINS0_14default_configENS1_22reduce_config_selectorIfEEZNS1_11reduce_implILb1ES3_PfS7_fN6thrust23THRUST_200600_302600_NS4plusIfEEEE10hipError_tPvRmT1_T2_T3_mT4_P12ihipStream_tbEUlT_E1_NS1_11comp_targetILNS1_3genE0ELNS1_11target_archE4294967295ELNS1_3gpuE0ELNS1_3repE0EEENS1_30default_config_static_selectorELNS0_4arch9wavefront6targetE1EEEvSF_
                                        ; -- End function
	.set _ZN7rocprim17ROCPRIM_400000_NS6detail17trampoline_kernelINS0_14default_configENS1_22reduce_config_selectorIfEEZNS1_11reduce_implILb1ES3_PfS7_fN6thrust23THRUST_200600_302600_NS4plusIfEEEE10hipError_tPvRmT1_T2_T3_mT4_P12ihipStream_tbEUlT_E1_NS1_11comp_targetILNS1_3genE0ELNS1_11target_archE4294967295ELNS1_3gpuE0ELNS1_3repE0EEENS1_30default_config_static_selectorELNS0_4arch9wavefront6targetE1EEEvSF_.num_vgpr, 0
	.set _ZN7rocprim17ROCPRIM_400000_NS6detail17trampoline_kernelINS0_14default_configENS1_22reduce_config_selectorIfEEZNS1_11reduce_implILb1ES3_PfS7_fN6thrust23THRUST_200600_302600_NS4plusIfEEEE10hipError_tPvRmT1_T2_T3_mT4_P12ihipStream_tbEUlT_E1_NS1_11comp_targetILNS1_3genE0ELNS1_11target_archE4294967295ELNS1_3gpuE0ELNS1_3repE0EEENS1_30default_config_static_selectorELNS0_4arch9wavefront6targetE1EEEvSF_.num_agpr, 0
	.set _ZN7rocprim17ROCPRIM_400000_NS6detail17trampoline_kernelINS0_14default_configENS1_22reduce_config_selectorIfEEZNS1_11reduce_implILb1ES3_PfS7_fN6thrust23THRUST_200600_302600_NS4plusIfEEEE10hipError_tPvRmT1_T2_T3_mT4_P12ihipStream_tbEUlT_E1_NS1_11comp_targetILNS1_3genE0ELNS1_11target_archE4294967295ELNS1_3gpuE0ELNS1_3repE0EEENS1_30default_config_static_selectorELNS0_4arch9wavefront6targetE1EEEvSF_.numbered_sgpr, 0
	.set _ZN7rocprim17ROCPRIM_400000_NS6detail17trampoline_kernelINS0_14default_configENS1_22reduce_config_selectorIfEEZNS1_11reduce_implILb1ES3_PfS7_fN6thrust23THRUST_200600_302600_NS4plusIfEEEE10hipError_tPvRmT1_T2_T3_mT4_P12ihipStream_tbEUlT_E1_NS1_11comp_targetILNS1_3genE0ELNS1_11target_archE4294967295ELNS1_3gpuE0ELNS1_3repE0EEENS1_30default_config_static_selectorELNS0_4arch9wavefront6targetE1EEEvSF_.num_named_barrier, 0
	.set _ZN7rocprim17ROCPRIM_400000_NS6detail17trampoline_kernelINS0_14default_configENS1_22reduce_config_selectorIfEEZNS1_11reduce_implILb1ES3_PfS7_fN6thrust23THRUST_200600_302600_NS4plusIfEEEE10hipError_tPvRmT1_T2_T3_mT4_P12ihipStream_tbEUlT_E1_NS1_11comp_targetILNS1_3genE0ELNS1_11target_archE4294967295ELNS1_3gpuE0ELNS1_3repE0EEENS1_30default_config_static_selectorELNS0_4arch9wavefront6targetE1EEEvSF_.private_seg_size, 0
	.set _ZN7rocprim17ROCPRIM_400000_NS6detail17trampoline_kernelINS0_14default_configENS1_22reduce_config_selectorIfEEZNS1_11reduce_implILb1ES3_PfS7_fN6thrust23THRUST_200600_302600_NS4plusIfEEEE10hipError_tPvRmT1_T2_T3_mT4_P12ihipStream_tbEUlT_E1_NS1_11comp_targetILNS1_3genE0ELNS1_11target_archE4294967295ELNS1_3gpuE0ELNS1_3repE0EEENS1_30default_config_static_selectorELNS0_4arch9wavefront6targetE1EEEvSF_.uses_vcc, 0
	.set _ZN7rocprim17ROCPRIM_400000_NS6detail17trampoline_kernelINS0_14default_configENS1_22reduce_config_selectorIfEEZNS1_11reduce_implILb1ES3_PfS7_fN6thrust23THRUST_200600_302600_NS4plusIfEEEE10hipError_tPvRmT1_T2_T3_mT4_P12ihipStream_tbEUlT_E1_NS1_11comp_targetILNS1_3genE0ELNS1_11target_archE4294967295ELNS1_3gpuE0ELNS1_3repE0EEENS1_30default_config_static_selectorELNS0_4arch9wavefront6targetE1EEEvSF_.uses_flat_scratch, 0
	.set _ZN7rocprim17ROCPRIM_400000_NS6detail17trampoline_kernelINS0_14default_configENS1_22reduce_config_selectorIfEEZNS1_11reduce_implILb1ES3_PfS7_fN6thrust23THRUST_200600_302600_NS4plusIfEEEE10hipError_tPvRmT1_T2_T3_mT4_P12ihipStream_tbEUlT_E1_NS1_11comp_targetILNS1_3genE0ELNS1_11target_archE4294967295ELNS1_3gpuE0ELNS1_3repE0EEENS1_30default_config_static_selectorELNS0_4arch9wavefront6targetE1EEEvSF_.has_dyn_sized_stack, 0
	.set _ZN7rocprim17ROCPRIM_400000_NS6detail17trampoline_kernelINS0_14default_configENS1_22reduce_config_selectorIfEEZNS1_11reduce_implILb1ES3_PfS7_fN6thrust23THRUST_200600_302600_NS4plusIfEEEE10hipError_tPvRmT1_T2_T3_mT4_P12ihipStream_tbEUlT_E1_NS1_11comp_targetILNS1_3genE0ELNS1_11target_archE4294967295ELNS1_3gpuE0ELNS1_3repE0EEENS1_30default_config_static_selectorELNS0_4arch9wavefront6targetE1EEEvSF_.has_recursion, 0
	.set _ZN7rocprim17ROCPRIM_400000_NS6detail17trampoline_kernelINS0_14default_configENS1_22reduce_config_selectorIfEEZNS1_11reduce_implILb1ES3_PfS7_fN6thrust23THRUST_200600_302600_NS4plusIfEEEE10hipError_tPvRmT1_T2_T3_mT4_P12ihipStream_tbEUlT_E1_NS1_11comp_targetILNS1_3genE0ELNS1_11target_archE4294967295ELNS1_3gpuE0ELNS1_3repE0EEENS1_30default_config_static_selectorELNS0_4arch9wavefront6targetE1EEEvSF_.has_indirect_call, 0
	.section	.AMDGPU.csdata,"",@progbits
; Kernel info:
; codeLenInByte = 0
; TotalNumSgprs: 4
; NumVgprs: 0
; ScratchSize: 0
; MemoryBound: 0
; FloatMode: 240
; IeeeMode: 1
; LDSByteSize: 0 bytes/workgroup (compile time only)
; SGPRBlocks: 0
; VGPRBlocks: 0
; NumSGPRsForWavesPerEU: 4
; NumVGPRsForWavesPerEU: 1
; Occupancy: 10
; WaveLimiterHint : 0
; COMPUTE_PGM_RSRC2:SCRATCH_EN: 0
; COMPUTE_PGM_RSRC2:USER_SGPR: 6
; COMPUTE_PGM_RSRC2:TRAP_HANDLER: 0
; COMPUTE_PGM_RSRC2:TGID_X_EN: 1
; COMPUTE_PGM_RSRC2:TGID_Y_EN: 0
; COMPUTE_PGM_RSRC2:TGID_Z_EN: 0
; COMPUTE_PGM_RSRC2:TIDIG_COMP_CNT: 0
	.section	.text._ZN7rocprim17ROCPRIM_400000_NS6detail17trampoline_kernelINS0_14default_configENS1_22reduce_config_selectorIfEEZNS1_11reduce_implILb1ES3_PfS7_fN6thrust23THRUST_200600_302600_NS4plusIfEEEE10hipError_tPvRmT1_T2_T3_mT4_P12ihipStream_tbEUlT_E1_NS1_11comp_targetILNS1_3genE5ELNS1_11target_archE942ELNS1_3gpuE9ELNS1_3repE0EEENS1_30default_config_static_selectorELNS0_4arch9wavefront6targetE1EEEvSF_,"axG",@progbits,_ZN7rocprim17ROCPRIM_400000_NS6detail17trampoline_kernelINS0_14default_configENS1_22reduce_config_selectorIfEEZNS1_11reduce_implILb1ES3_PfS7_fN6thrust23THRUST_200600_302600_NS4plusIfEEEE10hipError_tPvRmT1_T2_T3_mT4_P12ihipStream_tbEUlT_E1_NS1_11comp_targetILNS1_3genE5ELNS1_11target_archE942ELNS1_3gpuE9ELNS1_3repE0EEENS1_30default_config_static_selectorELNS0_4arch9wavefront6targetE1EEEvSF_,comdat
	.protected	_ZN7rocprim17ROCPRIM_400000_NS6detail17trampoline_kernelINS0_14default_configENS1_22reduce_config_selectorIfEEZNS1_11reduce_implILb1ES3_PfS7_fN6thrust23THRUST_200600_302600_NS4plusIfEEEE10hipError_tPvRmT1_T2_T3_mT4_P12ihipStream_tbEUlT_E1_NS1_11comp_targetILNS1_3genE5ELNS1_11target_archE942ELNS1_3gpuE9ELNS1_3repE0EEENS1_30default_config_static_selectorELNS0_4arch9wavefront6targetE1EEEvSF_ ; -- Begin function _ZN7rocprim17ROCPRIM_400000_NS6detail17trampoline_kernelINS0_14default_configENS1_22reduce_config_selectorIfEEZNS1_11reduce_implILb1ES3_PfS7_fN6thrust23THRUST_200600_302600_NS4plusIfEEEE10hipError_tPvRmT1_T2_T3_mT4_P12ihipStream_tbEUlT_E1_NS1_11comp_targetILNS1_3genE5ELNS1_11target_archE942ELNS1_3gpuE9ELNS1_3repE0EEENS1_30default_config_static_selectorELNS0_4arch9wavefront6targetE1EEEvSF_
	.globl	_ZN7rocprim17ROCPRIM_400000_NS6detail17trampoline_kernelINS0_14default_configENS1_22reduce_config_selectorIfEEZNS1_11reduce_implILb1ES3_PfS7_fN6thrust23THRUST_200600_302600_NS4plusIfEEEE10hipError_tPvRmT1_T2_T3_mT4_P12ihipStream_tbEUlT_E1_NS1_11comp_targetILNS1_3genE5ELNS1_11target_archE942ELNS1_3gpuE9ELNS1_3repE0EEENS1_30default_config_static_selectorELNS0_4arch9wavefront6targetE1EEEvSF_
	.p2align	8
	.type	_ZN7rocprim17ROCPRIM_400000_NS6detail17trampoline_kernelINS0_14default_configENS1_22reduce_config_selectorIfEEZNS1_11reduce_implILb1ES3_PfS7_fN6thrust23THRUST_200600_302600_NS4plusIfEEEE10hipError_tPvRmT1_T2_T3_mT4_P12ihipStream_tbEUlT_E1_NS1_11comp_targetILNS1_3genE5ELNS1_11target_archE942ELNS1_3gpuE9ELNS1_3repE0EEENS1_30default_config_static_selectorELNS0_4arch9wavefront6targetE1EEEvSF_,@function
_ZN7rocprim17ROCPRIM_400000_NS6detail17trampoline_kernelINS0_14default_configENS1_22reduce_config_selectorIfEEZNS1_11reduce_implILb1ES3_PfS7_fN6thrust23THRUST_200600_302600_NS4plusIfEEEE10hipError_tPvRmT1_T2_T3_mT4_P12ihipStream_tbEUlT_E1_NS1_11comp_targetILNS1_3genE5ELNS1_11target_archE942ELNS1_3gpuE9ELNS1_3repE0EEENS1_30default_config_static_selectorELNS0_4arch9wavefront6targetE1EEEvSF_: ; @_ZN7rocprim17ROCPRIM_400000_NS6detail17trampoline_kernelINS0_14default_configENS1_22reduce_config_selectorIfEEZNS1_11reduce_implILb1ES3_PfS7_fN6thrust23THRUST_200600_302600_NS4plusIfEEEE10hipError_tPvRmT1_T2_T3_mT4_P12ihipStream_tbEUlT_E1_NS1_11comp_targetILNS1_3genE5ELNS1_11target_archE942ELNS1_3gpuE9ELNS1_3repE0EEENS1_30default_config_static_selectorELNS0_4arch9wavefront6targetE1EEEvSF_
; %bb.0:
	.section	.rodata,"a",@progbits
	.p2align	6, 0x0
	.amdhsa_kernel _ZN7rocprim17ROCPRIM_400000_NS6detail17trampoline_kernelINS0_14default_configENS1_22reduce_config_selectorIfEEZNS1_11reduce_implILb1ES3_PfS7_fN6thrust23THRUST_200600_302600_NS4plusIfEEEE10hipError_tPvRmT1_T2_T3_mT4_P12ihipStream_tbEUlT_E1_NS1_11comp_targetILNS1_3genE5ELNS1_11target_archE942ELNS1_3gpuE9ELNS1_3repE0EEENS1_30default_config_static_selectorELNS0_4arch9wavefront6targetE1EEEvSF_
		.amdhsa_group_segment_fixed_size 0
		.amdhsa_private_segment_fixed_size 0
		.amdhsa_kernarg_size 40
		.amdhsa_user_sgpr_count 6
		.amdhsa_user_sgpr_private_segment_buffer 1
		.amdhsa_user_sgpr_dispatch_ptr 0
		.amdhsa_user_sgpr_queue_ptr 0
		.amdhsa_user_sgpr_kernarg_segment_ptr 1
		.amdhsa_user_sgpr_dispatch_id 0
		.amdhsa_user_sgpr_flat_scratch_init 0
		.amdhsa_user_sgpr_private_segment_size 0
		.amdhsa_uses_dynamic_stack 0
		.amdhsa_system_sgpr_private_segment_wavefront_offset 0
		.amdhsa_system_sgpr_workgroup_id_x 1
		.amdhsa_system_sgpr_workgroup_id_y 0
		.amdhsa_system_sgpr_workgroup_id_z 0
		.amdhsa_system_sgpr_workgroup_info 0
		.amdhsa_system_vgpr_workitem_id 0
		.amdhsa_next_free_vgpr 1
		.amdhsa_next_free_sgpr 0
		.amdhsa_reserve_vcc 0
		.amdhsa_reserve_flat_scratch 0
		.amdhsa_float_round_mode_32 0
		.amdhsa_float_round_mode_16_64 0
		.amdhsa_float_denorm_mode_32 3
		.amdhsa_float_denorm_mode_16_64 3
		.amdhsa_dx10_clamp 1
		.amdhsa_ieee_mode 1
		.amdhsa_fp16_overflow 0
		.amdhsa_exception_fp_ieee_invalid_op 0
		.amdhsa_exception_fp_denorm_src 0
		.amdhsa_exception_fp_ieee_div_zero 0
		.amdhsa_exception_fp_ieee_overflow 0
		.amdhsa_exception_fp_ieee_underflow 0
		.amdhsa_exception_fp_ieee_inexact 0
		.amdhsa_exception_int_div_zero 0
	.end_amdhsa_kernel
	.section	.text._ZN7rocprim17ROCPRIM_400000_NS6detail17trampoline_kernelINS0_14default_configENS1_22reduce_config_selectorIfEEZNS1_11reduce_implILb1ES3_PfS7_fN6thrust23THRUST_200600_302600_NS4plusIfEEEE10hipError_tPvRmT1_T2_T3_mT4_P12ihipStream_tbEUlT_E1_NS1_11comp_targetILNS1_3genE5ELNS1_11target_archE942ELNS1_3gpuE9ELNS1_3repE0EEENS1_30default_config_static_selectorELNS0_4arch9wavefront6targetE1EEEvSF_,"axG",@progbits,_ZN7rocprim17ROCPRIM_400000_NS6detail17trampoline_kernelINS0_14default_configENS1_22reduce_config_selectorIfEEZNS1_11reduce_implILb1ES3_PfS7_fN6thrust23THRUST_200600_302600_NS4plusIfEEEE10hipError_tPvRmT1_T2_T3_mT4_P12ihipStream_tbEUlT_E1_NS1_11comp_targetILNS1_3genE5ELNS1_11target_archE942ELNS1_3gpuE9ELNS1_3repE0EEENS1_30default_config_static_selectorELNS0_4arch9wavefront6targetE1EEEvSF_,comdat
.Lfunc_end10:
	.size	_ZN7rocprim17ROCPRIM_400000_NS6detail17trampoline_kernelINS0_14default_configENS1_22reduce_config_selectorIfEEZNS1_11reduce_implILb1ES3_PfS7_fN6thrust23THRUST_200600_302600_NS4plusIfEEEE10hipError_tPvRmT1_T2_T3_mT4_P12ihipStream_tbEUlT_E1_NS1_11comp_targetILNS1_3genE5ELNS1_11target_archE942ELNS1_3gpuE9ELNS1_3repE0EEENS1_30default_config_static_selectorELNS0_4arch9wavefront6targetE1EEEvSF_, .Lfunc_end10-_ZN7rocprim17ROCPRIM_400000_NS6detail17trampoline_kernelINS0_14default_configENS1_22reduce_config_selectorIfEEZNS1_11reduce_implILb1ES3_PfS7_fN6thrust23THRUST_200600_302600_NS4plusIfEEEE10hipError_tPvRmT1_T2_T3_mT4_P12ihipStream_tbEUlT_E1_NS1_11comp_targetILNS1_3genE5ELNS1_11target_archE942ELNS1_3gpuE9ELNS1_3repE0EEENS1_30default_config_static_selectorELNS0_4arch9wavefront6targetE1EEEvSF_
                                        ; -- End function
	.set _ZN7rocprim17ROCPRIM_400000_NS6detail17trampoline_kernelINS0_14default_configENS1_22reduce_config_selectorIfEEZNS1_11reduce_implILb1ES3_PfS7_fN6thrust23THRUST_200600_302600_NS4plusIfEEEE10hipError_tPvRmT1_T2_T3_mT4_P12ihipStream_tbEUlT_E1_NS1_11comp_targetILNS1_3genE5ELNS1_11target_archE942ELNS1_3gpuE9ELNS1_3repE0EEENS1_30default_config_static_selectorELNS0_4arch9wavefront6targetE1EEEvSF_.num_vgpr, 0
	.set _ZN7rocprim17ROCPRIM_400000_NS6detail17trampoline_kernelINS0_14default_configENS1_22reduce_config_selectorIfEEZNS1_11reduce_implILb1ES3_PfS7_fN6thrust23THRUST_200600_302600_NS4plusIfEEEE10hipError_tPvRmT1_T2_T3_mT4_P12ihipStream_tbEUlT_E1_NS1_11comp_targetILNS1_3genE5ELNS1_11target_archE942ELNS1_3gpuE9ELNS1_3repE0EEENS1_30default_config_static_selectorELNS0_4arch9wavefront6targetE1EEEvSF_.num_agpr, 0
	.set _ZN7rocprim17ROCPRIM_400000_NS6detail17trampoline_kernelINS0_14default_configENS1_22reduce_config_selectorIfEEZNS1_11reduce_implILb1ES3_PfS7_fN6thrust23THRUST_200600_302600_NS4plusIfEEEE10hipError_tPvRmT1_T2_T3_mT4_P12ihipStream_tbEUlT_E1_NS1_11comp_targetILNS1_3genE5ELNS1_11target_archE942ELNS1_3gpuE9ELNS1_3repE0EEENS1_30default_config_static_selectorELNS0_4arch9wavefront6targetE1EEEvSF_.numbered_sgpr, 0
	.set _ZN7rocprim17ROCPRIM_400000_NS6detail17trampoline_kernelINS0_14default_configENS1_22reduce_config_selectorIfEEZNS1_11reduce_implILb1ES3_PfS7_fN6thrust23THRUST_200600_302600_NS4plusIfEEEE10hipError_tPvRmT1_T2_T3_mT4_P12ihipStream_tbEUlT_E1_NS1_11comp_targetILNS1_3genE5ELNS1_11target_archE942ELNS1_3gpuE9ELNS1_3repE0EEENS1_30default_config_static_selectorELNS0_4arch9wavefront6targetE1EEEvSF_.num_named_barrier, 0
	.set _ZN7rocprim17ROCPRIM_400000_NS6detail17trampoline_kernelINS0_14default_configENS1_22reduce_config_selectorIfEEZNS1_11reduce_implILb1ES3_PfS7_fN6thrust23THRUST_200600_302600_NS4plusIfEEEE10hipError_tPvRmT1_T2_T3_mT4_P12ihipStream_tbEUlT_E1_NS1_11comp_targetILNS1_3genE5ELNS1_11target_archE942ELNS1_3gpuE9ELNS1_3repE0EEENS1_30default_config_static_selectorELNS0_4arch9wavefront6targetE1EEEvSF_.private_seg_size, 0
	.set _ZN7rocprim17ROCPRIM_400000_NS6detail17trampoline_kernelINS0_14default_configENS1_22reduce_config_selectorIfEEZNS1_11reduce_implILb1ES3_PfS7_fN6thrust23THRUST_200600_302600_NS4plusIfEEEE10hipError_tPvRmT1_T2_T3_mT4_P12ihipStream_tbEUlT_E1_NS1_11comp_targetILNS1_3genE5ELNS1_11target_archE942ELNS1_3gpuE9ELNS1_3repE0EEENS1_30default_config_static_selectorELNS0_4arch9wavefront6targetE1EEEvSF_.uses_vcc, 0
	.set _ZN7rocprim17ROCPRIM_400000_NS6detail17trampoline_kernelINS0_14default_configENS1_22reduce_config_selectorIfEEZNS1_11reduce_implILb1ES3_PfS7_fN6thrust23THRUST_200600_302600_NS4plusIfEEEE10hipError_tPvRmT1_T2_T3_mT4_P12ihipStream_tbEUlT_E1_NS1_11comp_targetILNS1_3genE5ELNS1_11target_archE942ELNS1_3gpuE9ELNS1_3repE0EEENS1_30default_config_static_selectorELNS0_4arch9wavefront6targetE1EEEvSF_.uses_flat_scratch, 0
	.set _ZN7rocprim17ROCPRIM_400000_NS6detail17trampoline_kernelINS0_14default_configENS1_22reduce_config_selectorIfEEZNS1_11reduce_implILb1ES3_PfS7_fN6thrust23THRUST_200600_302600_NS4plusIfEEEE10hipError_tPvRmT1_T2_T3_mT4_P12ihipStream_tbEUlT_E1_NS1_11comp_targetILNS1_3genE5ELNS1_11target_archE942ELNS1_3gpuE9ELNS1_3repE0EEENS1_30default_config_static_selectorELNS0_4arch9wavefront6targetE1EEEvSF_.has_dyn_sized_stack, 0
	.set _ZN7rocprim17ROCPRIM_400000_NS6detail17trampoline_kernelINS0_14default_configENS1_22reduce_config_selectorIfEEZNS1_11reduce_implILb1ES3_PfS7_fN6thrust23THRUST_200600_302600_NS4plusIfEEEE10hipError_tPvRmT1_T2_T3_mT4_P12ihipStream_tbEUlT_E1_NS1_11comp_targetILNS1_3genE5ELNS1_11target_archE942ELNS1_3gpuE9ELNS1_3repE0EEENS1_30default_config_static_selectorELNS0_4arch9wavefront6targetE1EEEvSF_.has_recursion, 0
	.set _ZN7rocprim17ROCPRIM_400000_NS6detail17trampoline_kernelINS0_14default_configENS1_22reduce_config_selectorIfEEZNS1_11reduce_implILb1ES3_PfS7_fN6thrust23THRUST_200600_302600_NS4plusIfEEEE10hipError_tPvRmT1_T2_T3_mT4_P12ihipStream_tbEUlT_E1_NS1_11comp_targetILNS1_3genE5ELNS1_11target_archE942ELNS1_3gpuE9ELNS1_3repE0EEENS1_30default_config_static_selectorELNS0_4arch9wavefront6targetE1EEEvSF_.has_indirect_call, 0
	.section	.AMDGPU.csdata,"",@progbits
; Kernel info:
; codeLenInByte = 0
; TotalNumSgprs: 4
; NumVgprs: 0
; ScratchSize: 0
; MemoryBound: 0
; FloatMode: 240
; IeeeMode: 1
; LDSByteSize: 0 bytes/workgroup (compile time only)
; SGPRBlocks: 0
; VGPRBlocks: 0
; NumSGPRsForWavesPerEU: 4
; NumVGPRsForWavesPerEU: 1
; Occupancy: 10
; WaveLimiterHint : 0
; COMPUTE_PGM_RSRC2:SCRATCH_EN: 0
; COMPUTE_PGM_RSRC2:USER_SGPR: 6
; COMPUTE_PGM_RSRC2:TRAP_HANDLER: 0
; COMPUTE_PGM_RSRC2:TGID_X_EN: 1
; COMPUTE_PGM_RSRC2:TGID_Y_EN: 0
; COMPUTE_PGM_RSRC2:TGID_Z_EN: 0
; COMPUTE_PGM_RSRC2:TIDIG_COMP_CNT: 0
	.section	.text._ZN7rocprim17ROCPRIM_400000_NS6detail17trampoline_kernelINS0_14default_configENS1_22reduce_config_selectorIfEEZNS1_11reduce_implILb1ES3_PfS7_fN6thrust23THRUST_200600_302600_NS4plusIfEEEE10hipError_tPvRmT1_T2_T3_mT4_P12ihipStream_tbEUlT_E1_NS1_11comp_targetILNS1_3genE4ELNS1_11target_archE910ELNS1_3gpuE8ELNS1_3repE0EEENS1_30default_config_static_selectorELNS0_4arch9wavefront6targetE1EEEvSF_,"axG",@progbits,_ZN7rocprim17ROCPRIM_400000_NS6detail17trampoline_kernelINS0_14default_configENS1_22reduce_config_selectorIfEEZNS1_11reduce_implILb1ES3_PfS7_fN6thrust23THRUST_200600_302600_NS4plusIfEEEE10hipError_tPvRmT1_T2_T3_mT4_P12ihipStream_tbEUlT_E1_NS1_11comp_targetILNS1_3genE4ELNS1_11target_archE910ELNS1_3gpuE8ELNS1_3repE0EEENS1_30default_config_static_selectorELNS0_4arch9wavefront6targetE1EEEvSF_,comdat
	.protected	_ZN7rocprim17ROCPRIM_400000_NS6detail17trampoline_kernelINS0_14default_configENS1_22reduce_config_selectorIfEEZNS1_11reduce_implILb1ES3_PfS7_fN6thrust23THRUST_200600_302600_NS4plusIfEEEE10hipError_tPvRmT1_T2_T3_mT4_P12ihipStream_tbEUlT_E1_NS1_11comp_targetILNS1_3genE4ELNS1_11target_archE910ELNS1_3gpuE8ELNS1_3repE0EEENS1_30default_config_static_selectorELNS0_4arch9wavefront6targetE1EEEvSF_ ; -- Begin function _ZN7rocprim17ROCPRIM_400000_NS6detail17trampoline_kernelINS0_14default_configENS1_22reduce_config_selectorIfEEZNS1_11reduce_implILb1ES3_PfS7_fN6thrust23THRUST_200600_302600_NS4plusIfEEEE10hipError_tPvRmT1_T2_T3_mT4_P12ihipStream_tbEUlT_E1_NS1_11comp_targetILNS1_3genE4ELNS1_11target_archE910ELNS1_3gpuE8ELNS1_3repE0EEENS1_30default_config_static_selectorELNS0_4arch9wavefront6targetE1EEEvSF_
	.globl	_ZN7rocprim17ROCPRIM_400000_NS6detail17trampoline_kernelINS0_14default_configENS1_22reduce_config_selectorIfEEZNS1_11reduce_implILb1ES3_PfS7_fN6thrust23THRUST_200600_302600_NS4plusIfEEEE10hipError_tPvRmT1_T2_T3_mT4_P12ihipStream_tbEUlT_E1_NS1_11comp_targetILNS1_3genE4ELNS1_11target_archE910ELNS1_3gpuE8ELNS1_3repE0EEENS1_30default_config_static_selectorELNS0_4arch9wavefront6targetE1EEEvSF_
	.p2align	8
	.type	_ZN7rocprim17ROCPRIM_400000_NS6detail17trampoline_kernelINS0_14default_configENS1_22reduce_config_selectorIfEEZNS1_11reduce_implILb1ES3_PfS7_fN6thrust23THRUST_200600_302600_NS4plusIfEEEE10hipError_tPvRmT1_T2_T3_mT4_P12ihipStream_tbEUlT_E1_NS1_11comp_targetILNS1_3genE4ELNS1_11target_archE910ELNS1_3gpuE8ELNS1_3repE0EEENS1_30default_config_static_selectorELNS0_4arch9wavefront6targetE1EEEvSF_,@function
_ZN7rocprim17ROCPRIM_400000_NS6detail17trampoline_kernelINS0_14default_configENS1_22reduce_config_selectorIfEEZNS1_11reduce_implILb1ES3_PfS7_fN6thrust23THRUST_200600_302600_NS4plusIfEEEE10hipError_tPvRmT1_T2_T3_mT4_P12ihipStream_tbEUlT_E1_NS1_11comp_targetILNS1_3genE4ELNS1_11target_archE910ELNS1_3gpuE8ELNS1_3repE0EEENS1_30default_config_static_selectorELNS0_4arch9wavefront6targetE1EEEvSF_: ; @_ZN7rocprim17ROCPRIM_400000_NS6detail17trampoline_kernelINS0_14default_configENS1_22reduce_config_selectorIfEEZNS1_11reduce_implILb1ES3_PfS7_fN6thrust23THRUST_200600_302600_NS4plusIfEEEE10hipError_tPvRmT1_T2_T3_mT4_P12ihipStream_tbEUlT_E1_NS1_11comp_targetILNS1_3genE4ELNS1_11target_archE910ELNS1_3gpuE8ELNS1_3repE0EEENS1_30default_config_static_selectorELNS0_4arch9wavefront6targetE1EEEvSF_
; %bb.0:
	.section	.rodata,"a",@progbits
	.p2align	6, 0x0
	.amdhsa_kernel _ZN7rocprim17ROCPRIM_400000_NS6detail17trampoline_kernelINS0_14default_configENS1_22reduce_config_selectorIfEEZNS1_11reduce_implILb1ES3_PfS7_fN6thrust23THRUST_200600_302600_NS4plusIfEEEE10hipError_tPvRmT1_T2_T3_mT4_P12ihipStream_tbEUlT_E1_NS1_11comp_targetILNS1_3genE4ELNS1_11target_archE910ELNS1_3gpuE8ELNS1_3repE0EEENS1_30default_config_static_selectorELNS0_4arch9wavefront6targetE1EEEvSF_
		.amdhsa_group_segment_fixed_size 0
		.amdhsa_private_segment_fixed_size 0
		.amdhsa_kernarg_size 40
		.amdhsa_user_sgpr_count 6
		.amdhsa_user_sgpr_private_segment_buffer 1
		.amdhsa_user_sgpr_dispatch_ptr 0
		.amdhsa_user_sgpr_queue_ptr 0
		.amdhsa_user_sgpr_kernarg_segment_ptr 1
		.amdhsa_user_sgpr_dispatch_id 0
		.amdhsa_user_sgpr_flat_scratch_init 0
		.amdhsa_user_sgpr_private_segment_size 0
		.amdhsa_uses_dynamic_stack 0
		.amdhsa_system_sgpr_private_segment_wavefront_offset 0
		.amdhsa_system_sgpr_workgroup_id_x 1
		.amdhsa_system_sgpr_workgroup_id_y 0
		.amdhsa_system_sgpr_workgroup_id_z 0
		.amdhsa_system_sgpr_workgroup_info 0
		.amdhsa_system_vgpr_workitem_id 0
		.amdhsa_next_free_vgpr 1
		.amdhsa_next_free_sgpr 0
		.amdhsa_reserve_vcc 0
		.amdhsa_reserve_flat_scratch 0
		.amdhsa_float_round_mode_32 0
		.amdhsa_float_round_mode_16_64 0
		.amdhsa_float_denorm_mode_32 3
		.amdhsa_float_denorm_mode_16_64 3
		.amdhsa_dx10_clamp 1
		.amdhsa_ieee_mode 1
		.amdhsa_fp16_overflow 0
		.amdhsa_exception_fp_ieee_invalid_op 0
		.amdhsa_exception_fp_denorm_src 0
		.amdhsa_exception_fp_ieee_div_zero 0
		.amdhsa_exception_fp_ieee_overflow 0
		.amdhsa_exception_fp_ieee_underflow 0
		.amdhsa_exception_fp_ieee_inexact 0
		.amdhsa_exception_int_div_zero 0
	.end_amdhsa_kernel
	.section	.text._ZN7rocprim17ROCPRIM_400000_NS6detail17trampoline_kernelINS0_14default_configENS1_22reduce_config_selectorIfEEZNS1_11reduce_implILb1ES3_PfS7_fN6thrust23THRUST_200600_302600_NS4plusIfEEEE10hipError_tPvRmT1_T2_T3_mT4_P12ihipStream_tbEUlT_E1_NS1_11comp_targetILNS1_3genE4ELNS1_11target_archE910ELNS1_3gpuE8ELNS1_3repE0EEENS1_30default_config_static_selectorELNS0_4arch9wavefront6targetE1EEEvSF_,"axG",@progbits,_ZN7rocprim17ROCPRIM_400000_NS6detail17trampoline_kernelINS0_14default_configENS1_22reduce_config_selectorIfEEZNS1_11reduce_implILb1ES3_PfS7_fN6thrust23THRUST_200600_302600_NS4plusIfEEEE10hipError_tPvRmT1_T2_T3_mT4_P12ihipStream_tbEUlT_E1_NS1_11comp_targetILNS1_3genE4ELNS1_11target_archE910ELNS1_3gpuE8ELNS1_3repE0EEENS1_30default_config_static_selectorELNS0_4arch9wavefront6targetE1EEEvSF_,comdat
.Lfunc_end11:
	.size	_ZN7rocprim17ROCPRIM_400000_NS6detail17trampoline_kernelINS0_14default_configENS1_22reduce_config_selectorIfEEZNS1_11reduce_implILb1ES3_PfS7_fN6thrust23THRUST_200600_302600_NS4plusIfEEEE10hipError_tPvRmT1_T2_T3_mT4_P12ihipStream_tbEUlT_E1_NS1_11comp_targetILNS1_3genE4ELNS1_11target_archE910ELNS1_3gpuE8ELNS1_3repE0EEENS1_30default_config_static_selectorELNS0_4arch9wavefront6targetE1EEEvSF_, .Lfunc_end11-_ZN7rocprim17ROCPRIM_400000_NS6detail17trampoline_kernelINS0_14default_configENS1_22reduce_config_selectorIfEEZNS1_11reduce_implILb1ES3_PfS7_fN6thrust23THRUST_200600_302600_NS4plusIfEEEE10hipError_tPvRmT1_T2_T3_mT4_P12ihipStream_tbEUlT_E1_NS1_11comp_targetILNS1_3genE4ELNS1_11target_archE910ELNS1_3gpuE8ELNS1_3repE0EEENS1_30default_config_static_selectorELNS0_4arch9wavefront6targetE1EEEvSF_
                                        ; -- End function
	.set _ZN7rocprim17ROCPRIM_400000_NS6detail17trampoline_kernelINS0_14default_configENS1_22reduce_config_selectorIfEEZNS1_11reduce_implILb1ES3_PfS7_fN6thrust23THRUST_200600_302600_NS4plusIfEEEE10hipError_tPvRmT1_T2_T3_mT4_P12ihipStream_tbEUlT_E1_NS1_11comp_targetILNS1_3genE4ELNS1_11target_archE910ELNS1_3gpuE8ELNS1_3repE0EEENS1_30default_config_static_selectorELNS0_4arch9wavefront6targetE1EEEvSF_.num_vgpr, 0
	.set _ZN7rocprim17ROCPRIM_400000_NS6detail17trampoline_kernelINS0_14default_configENS1_22reduce_config_selectorIfEEZNS1_11reduce_implILb1ES3_PfS7_fN6thrust23THRUST_200600_302600_NS4plusIfEEEE10hipError_tPvRmT1_T2_T3_mT4_P12ihipStream_tbEUlT_E1_NS1_11comp_targetILNS1_3genE4ELNS1_11target_archE910ELNS1_3gpuE8ELNS1_3repE0EEENS1_30default_config_static_selectorELNS0_4arch9wavefront6targetE1EEEvSF_.num_agpr, 0
	.set _ZN7rocprim17ROCPRIM_400000_NS6detail17trampoline_kernelINS0_14default_configENS1_22reduce_config_selectorIfEEZNS1_11reduce_implILb1ES3_PfS7_fN6thrust23THRUST_200600_302600_NS4plusIfEEEE10hipError_tPvRmT1_T2_T3_mT4_P12ihipStream_tbEUlT_E1_NS1_11comp_targetILNS1_3genE4ELNS1_11target_archE910ELNS1_3gpuE8ELNS1_3repE0EEENS1_30default_config_static_selectorELNS0_4arch9wavefront6targetE1EEEvSF_.numbered_sgpr, 0
	.set _ZN7rocprim17ROCPRIM_400000_NS6detail17trampoline_kernelINS0_14default_configENS1_22reduce_config_selectorIfEEZNS1_11reduce_implILb1ES3_PfS7_fN6thrust23THRUST_200600_302600_NS4plusIfEEEE10hipError_tPvRmT1_T2_T3_mT4_P12ihipStream_tbEUlT_E1_NS1_11comp_targetILNS1_3genE4ELNS1_11target_archE910ELNS1_3gpuE8ELNS1_3repE0EEENS1_30default_config_static_selectorELNS0_4arch9wavefront6targetE1EEEvSF_.num_named_barrier, 0
	.set _ZN7rocprim17ROCPRIM_400000_NS6detail17trampoline_kernelINS0_14default_configENS1_22reduce_config_selectorIfEEZNS1_11reduce_implILb1ES3_PfS7_fN6thrust23THRUST_200600_302600_NS4plusIfEEEE10hipError_tPvRmT1_T2_T3_mT4_P12ihipStream_tbEUlT_E1_NS1_11comp_targetILNS1_3genE4ELNS1_11target_archE910ELNS1_3gpuE8ELNS1_3repE0EEENS1_30default_config_static_selectorELNS0_4arch9wavefront6targetE1EEEvSF_.private_seg_size, 0
	.set _ZN7rocprim17ROCPRIM_400000_NS6detail17trampoline_kernelINS0_14default_configENS1_22reduce_config_selectorIfEEZNS1_11reduce_implILb1ES3_PfS7_fN6thrust23THRUST_200600_302600_NS4plusIfEEEE10hipError_tPvRmT1_T2_T3_mT4_P12ihipStream_tbEUlT_E1_NS1_11comp_targetILNS1_3genE4ELNS1_11target_archE910ELNS1_3gpuE8ELNS1_3repE0EEENS1_30default_config_static_selectorELNS0_4arch9wavefront6targetE1EEEvSF_.uses_vcc, 0
	.set _ZN7rocprim17ROCPRIM_400000_NS6detail17trampoline_kernelINS0_14default_configENS1_22reduce_config_selectorIfEEZNS1_11reduce_implILb1ES3_PfS7_fN6thrust23THRUST_200600_302600_NS4plusIfEEEE10hipError_tPvRmT1_T2_T3_mT4_P12ihipStream_tbEUlT_E1_NS1_11comp_targetILNS1_3genE4ELNS1_11target_archE910ELNS1_3gpuE8ELNS1_3repE0EEENS1_30default_config_static_selectorELNS0_4arch9wavefront6targetE1EEEvSF_.uses_flat_scratch, 0
	.set _ZN7rocprim17ROCPRIM_400000_NS6detail17trampoline_kernelINS0_14default_configENS1_22reduce_config_selectorIfEEZNS1_11reduce_implILb1ES3_PfS7_fN6thrust23THRUST_200600_302600_NS4plusIfEEEE10hipError_tPvRmT1_T2_T3_mT4_P12ihipStream_tbEUlT_E1_NS1_11comp_targetILNS1_3genE4ELNS1_11target_archE910ELNS1_3gpuE8ELNS1_3repE0EEENS1_30default_config_static_selectorELNS0_4arch9wavefront6targetE1EEEvSF_.has_dyn_sized_stack, 0
	.set _ZN7rocprim17ROCPRIM_400000_NS6detail17trampoline_kernelINS0_14default_configENS1_22reduce_config_selectorIfEEZNS1_11reduce_implILb1ES3_PfS7_fN6thrust23THRUST_200600_302600_NS4plusIfEEEE10hipError_tPvRmT1_T2_T3_mT4_P12ihipStream_tbEUlT_E1_NS1_11comp_targetILNS1_3genE4ELNS1_11target_archE910ELNS1_3gpuE8ELNS1_3repE0EEENS1_30default_config_static_selectorELNS0_4arch9wavefront6targetE1EEEvSF_.has_recursion, 0
	.set _ZN7rocprim17ROCPRIM_400000_NS6detail17trampoline_kernelINS0_14default_configENS1_22reduce_config_selectorIfEEZNS1_11reduce_implILb1ES3_PfS7_fN6thrust23THRUST_200600_302600_NS4plusIfEEEE10hipError_tPvRmT1_T2_T3_mT4_P12ihipStream_tbEUlT_E1_NS1_11comp_targetILNS1_3genE4ELNS1_11target_archE910ELNS1_3gpuE8ELNS1_3repE0EEENS1_30default_config_static_selectorELNS0_4arch9wavefront6targetE1EEEvSF_.has_indirect_call, 0
	.section	.AMDGPU.csdata,"",@progbits
; Kernel info:
; codeLenInByte = 0
; TotalNumSgprs: 4
; NumVgprs: 0
; ScratchSize: 0
; MemoryBound: 0
; FloatMode: 240
; IeeeMode: 1
; LDSByteSize: 0 bytes/workgroup (compile time only)
; SGPRBlocks: 0
; VGPRBlocks: 0
; NumSGPRsForWavesPerEU: 4
; NumVGPRsForWavesPerEU: 1
; Occupancy: 10
; WaveLimiterHint : 0
; COMPUTE_PGM_RSRC2:SCRATCH_EN: 0
; COMPUTE_PGM_RSRC2:USER_SGPR: 6
; COMPUTE_PGM_RSRC2:TRAP_HANDLER: 0
; COMPUTE_PGM_RSRC2:TGID_X_EN: 1
; COMPUTE_PGM_RSRC2:TGID_Y_EN: 0
; COMPUTE_PGM_RSRC2:TGID_Z_EN: 0
; COMPUTE_PGM_RSRC2:TIDIG_COMP_CNT: 0
	.section	.text._ZN7rocprim17ROCPRIM_400000_NS6detail17trampoline_kernelINS0_14default_configENS1_22reduce_config_selectorIfEEZNS1_11reduce_implILb1ES3_PfS7_fN6thrust23THRUST_200600_302600_NS4plusIfEEEE10hipError_tPvRmT1_T2_T3_mT4_P12ihipStream_tbEUlT_E1_NS1_11comp_targetILNS1_3genE3ELNS1_11target_archE908ELNS1_3gpuE7ELNS1_3repE0EEENS1_30default_config_static_selectorELNS0_4arch9wavefront6targetE1EEEvSF_,"axG",@progbits,_ZN7rocprim17ROCPRIM_400000_NS6detail17trampoline_kernelINS0_14default_configENS1_22reduce_config_selectorIfEEZNS1_11reduce_implILb1ES3_PfS7_fN6thrust23THRUST_200600_302600_NS4plusIfEEEE10hipError_tPvRmT1_T2_T3_mT4_P12ihipStream_tbEUlT_E1_NS1_11comp_targetILNS1_3genE3ELNS1_11target_archE908ELNS1_3gpuE7ELNS1_3repE0EEENS1_30default_config_static_selectorELNS0_4arch9wavefront6targetE1EEEvSF_,comdat
	.protected	_ZN7rocprim17ROCPRIM_400000_NS6detail17trampoline_kernelINS0_14default_configENS1_22reduce_config_selectorIfEEZNS1_11reduce_implILb1ES3_PfS7_fN6thrust23THRUST_200600_302600_NS4plusIfEEEE10hipError_tPvRmT1_T2_T3_mT4_P12ihipStream_tbEUlT_E1_NS1_11comp_targetILNS1_3genE3ELNS1_11target_archE908ELNS1_3gpuE7ELNS1_3repE0EEENS1_30default_config_static_selectorELNS0_4arch9wavefront6targetE1EEEvSF_ ; -- Begin function _ZN7rocprim17ROCPRIM_400000_NS6detail17trampoline_kernelINS0_14default_configENS1_22reduce_config_selectorIfEEZNS1_11reduce_implILb1ES3_PfS7_fN6thrust23THRUST_200600_302600_NS4plusIfEEEE10hipError_tPvRmT1_T2_T3_mT4_P12ihipStream_tbEUlT_E1_NS1_11comp_targetILNS1_3genE3ELNS1_11target_archE908ELNS1_3gpuE7ELNS1_3repE0EEENS1_30default_config_static_selectorELNS0_4arch9wavefront6targetE1EEEvSF_
	.globl	_ZN7rocprim17ROCPRIM_400000_NS6detail17trampoline_kernelINS0_14default_configENS1_22reduce_config_selectorIfEEZNS1_11reduce_implILb1ES3_PfS7_fN6thrust23THRUST_200600_302600_NS4plusIfEEEE10hipError_tPvRmT1_T2_T3_mT4_P12ihipStream_tbEUlT_E1_NS1_11comp_targetILNS1_3genE3ELNS1_11target_archE908ELNS1_3gpuE7ELNS1_3repE0EEENS1_30default_config_static_selectorELNS0_4arch9wavefront6targetE1EEEvSF_
	.p2align	8
	.type	_ZN7rocprim17ROCPRIM_400000_NS6detail17trampoline_kernelINS0_14default_configENS1_22reduce_config_selectorIfEEZNS1_11reduce_implILb1ES3_PfS7_fN6thrust23THRUST_200600_302600_NS4plusIfEEEE10hipError_tPvRmT1_T2_T3_mT4_P12ihipStream_tbEUlT_E1_NS1_11comp_targetILNS1_3genE3ELNS1_11target_archE908ELNS1_3gpuE7ELNS1_3repE0EEENS1_30default_config_static_selectorELNS0_4arch9wavefront6targetE1EEEvSF_,@function
_ZN7rocprim17ROCPRIM_400000_NS6detail17trampoline_kernelINS0_14default_configENS1_22reduce_config_selectorIfEEZNS1_11reduce_implILb1ES3_PfS7_fN6thrust23THRUST_200600_302600_NS4plusIfEEEE10hipError_tPvRmT1_T2_T3_mT4_P12ihipStream_tbEUlT_E1_NS1_11comp_targetILNS1_3genE3ELNS1_11target_archE908ELNS1_3gpuE7ELNS1_3repE0EEENS1_30default_config_static_selectorELNS0_4arch9wavefront6targetE1EEEvSF_: ; @_ZN7rocprim17ROCPRIM_400000_NS6detail17trampoline_kernelINS0_14default_configENS1_22reduce_config_selectorIfEEZNS1_11reduce_implILb1ES3_PfS7_fN6thrust23THRUST_200600_302600_NS4plusIfEEEE10hipError_tPvRmT1_T2_T3_mT4_P12ihipStream_tbEUlT_E1_NS1_11comp_targetILNS1_3genE3ELNS1_11target_archE908ELNS1_3gpuE7ELNS1_3repE0EEENS1_30default_config_static_selectorELNS0_4arch9wavefront6targetE1EEEvSF_
; %bb.0:
	.section	.rodata,"a",@progbits
	.p2align	6, 0x0
	.amdhsa_kernel _ZN7rocprim17ROCPRIM_400000_NS6detail17trampoline_kernelINS0_14default_configENS1_22reduce_config_selectorIfEEZNS1_11reduce_implILb1ES3_PfS7_fN6thrust23THRUST_200600_302600_NS4plusIfEEEE10hipError_tPvRmT1_T2_T3_mT4_P12ihipStream_tbEUlT_E1_NS1_11comp_targetILNS1_3genE3ELNS1_11target_archE908ELNS1_3gpuE7ELNS1_3repE0EEENS1_30default_config_static_selectorELNS0_4arch9wavefront6targetE1EEEvSF_
		.amdhsa_group_segment_fixed_size 0
		.amdhsa_private_segment_fixed_size 0
		.amdhsa_kernarg_size 40
		.amdhsa_user_sgpr_count 6
		.amdhsa_user_sgpr_private_segment_buffer 1
		.amdhsa_user_sgpr_dispatch_ptr 0
		.amdhsa_user_sgpr_queue_ptr 0
		.amdhsa_user_sgpr_kernarg_segment_ptr 1
		.amdhsa_user_sgpr_dispatch_id 0
		.amdhsa_user_sgpr_flat_scratch_init 0
		.amdhsa_user_sgpr_private_segment_size 0
		.amdhsa_uses_dynamic_stack 0
		.amdhsa_system_sgpr_private_segment_wavefront_offset 0
		.amdhsa_system_sgpr_workgroup_id_x 1
		.amdhsa_system_sgpr_workgroup_id_y 0
		.amdhsa_system_sgpr_workgroup_id_z 0
		.amdhsa_system_sgpr_workgroup_info 0
		.amdhsa_system_vgpr_workitem_id 0
		.amdhsa_next_free_vgpr 1
		.amdhsa_next_free_sgpr 0
		.amdhsa_reserve_vcc 0
		.amdhsa_reserve_flat_scratch 0
		.amdhsa_float_round_mode_32 0
		.amdhsa_float_round_mode_16_64 0
		.amdhsa_float_denorm_mode_32 3
		.amdhsa_float_denorm_mode_16_64 3
		.amdhsa_dx10_clamp 1
		.amdhsa_ieee_mode 1
		.amdhsa_fp16_overflow 0
		.amdhsa_exception_fp_ieee_invalid_op 0
		.amdhsa_exception_fp_denorm_src 0
		.amdhsa_exception_fp_ieee_div_zero 0
		.amdhsa_exception_fp_ieee_overflow 0
		.amdhsa_exception_fp_ieee_underflow 0
		.amdhsa_exception_fp_ieee_inexact 0
		.amdhsa_exception_int_div_zero 0
	.end_amdhsa_kernel
	.section	.text._ZN7rocprim17ROCPRIM_400000_NS6detail17trampoline_kernelINS0_14default_configENS1_22reduce_config_selectorIfEEZNS1_11reduce_implILb1ES3_PfS7_fN6thrust23THRUST_200600_302600_NS4plusIfEEEE10hipError_tPvRmT1_T2_T3_mT4_P12ihipStream_tbEUlT_E1_NS1_11comp_targetILNS1_3genE3ELNS1_11target_archE908ELNS1_3gpuE7ELNS1_3repE0EEENS1_30default_config_static_selectorELNS0_4arch9wavefront6targetE1EEEvSF_,"axG",@progbits,_ZN7rocprim17ROCPRIM_400000_NS6detail17trampoline_kernelINS0_14default_configENS1_22reduce_config_selectorIfEEZNS1_11reduce_implILb1ES3_PfS7_fN6thrust23THRUST_200600_302600_NS4plusIfEEEE10hipError_tPvRmT1_T2_T3_mT4_P12ihipStream_tbEUlT_E1_NS1_11comp_targetILNS1_3genE3ELNS1_11target_archE908ELNS1_3gpuE7ELNS1_3repE0EEENS1_30default_config_static_selectorELNS0_4arch9wavefront6targetE1EEEvSF_,comdat
.Lfunc_end12:
	.size	_ZN7rocprim17ROCPRIM_400000_NS6detail17trampoline_kernelINS0_14default_configENS1_22reduce_config_selectorIfEEZNS1_11reduce_implILb1ES3_PfS7_fN6thrust23THRUST_200600_302600_NS4plusIfEEEE10hipError_tPvRmT1_T2_T3_mT4_P12ihipStream_tbEUlT_E1_NS1_11comp_targetILNS1_3genE3ELNS1_11target_archE908ELNS1_3gpuE7ELNS1_3repE0EEENS1_30default_config_static_selectorELNS0_4arch9wavefront6targetE1EEEvSF_, .Lfunc_end12-_ZN7rocprim17ROCPRIM_400000_NS6detail17trampoline_kernelINS0_14default_configENS1_22reduce_config_selectorIfEEZNS1_11reduce_implILb1ES3_PfS7_fN6thrust23THRUST_200600_302600_NS4plusIfEEEE10hipError_tPvRmT1_T2_T3_mT4_P12ihipStream_tbEUlT_E1_NS1_11comp_targetILNS1_3genE3ELNS1_11target_archE908ELNS1_3gpuE7ELNS1_3repE0EEENS1_30default_config_static_selectorELNS0_4arch9wavefront6targetE1EEEvSF_
                                        ; -- End function
	.set _ZN7rocprim17ROCPRIM_400000_NS6detail17trampoline_kernelINS0_14default_configENS1_22reduce_config_selectorIfEEZNS1_11reduce_implILb1ES3_PfS7_fN6thrust23THRUST_200600_302600_NS4plusIfEEEE10hipError_tPvRmT1_T2_T3_mT4_P12ihipStream_tbEUlT_E1_NS1_11comp_targetILNS1_3genE3ELNS1_11target_archE908ELNS1_3gpuE7ELNS1_3repE0EEENS1_30default_config_static_selectorELNS0_4arch9wavefront6targetE1EEEvSF_.num_vgpr, 0
	.set _ZN7rocprim17ROCPRIM_400000_NS6detail17trampoline_kernelINS0_14default_configENS1_22reduce_config_selectorIfEEZNS1_11reduce_implILb1ES3_PfS7_fN6thrust23THRUST_200600_302600_NS4plusIfEEEE10hipError_tPvRmT1_T2_T3_mT4_P12ihipStream_tbEUlT_E1_NS1_11comp_targetILNS1_3genE3ELNS1_11target_archE908ELNS1_3gpuE7ELNS1_3repE0EEENS1_30default_config_static_selectorELNS0_4arch9wavefront6targetE1EEEvSF_.num_agpr, 0
	.set _ZN7rocprim17ROCPRIM_400000_NS6detail17trampoline_kernelINS0_14default_configENS1_22reduce_config_selectorIfEEZNS1_11reduce_implILb1ES3_PfS7_fN6thrust23THRUST_200600_302600_NS4plusIfEEEE10hipError_tPvRmT1_T2_T3_mT4_P12ihipStream_tbEUlT_E1_NS1_11comp_targetILNS1_3genE3ELNS1_11target_archE908ELNS1_3gpuE7ELNS1_3repE0EEENS1_30default_config_static_selectorELNS0_4arch9wavefront6targetE1EEEvSF_.numbered_sgpr, 0
	.set _ZN7rocprim17ROCPRIM_400000_NS6detail17trampoline_kernelINS0_14default_configENS1_22reduce_config_selectorIfEEZNS1_11reduce_implILb1ES3_PfS7_fN6thrust23THRUST_200600_302600_NS4plusIfEEEE10hipError_tPvRmT1_T2_T3_mT4_P12ihipStream_tbEUlT_E1_NS1_11comp_targetILNS1_3genE3ELNS1_11target_archE908ELNS1_3gpuE7ELNS1_3repE0EEENS1_30default_config_static_selectorELNS0_4arch9wavefront6targetE1EEEvSF_.num_named_barrier, 0
	.set _ZN7rocprim17ROCPRIM_400000_NS6detail17trampoline_kernelINS0_14default_configENS1_22reduce_config_selectorIfEEZNS1_11reduce_implILb1ES3_PfS7_fN6thrust23THRUST_200600_302600_NS4plusIfEEEE10hipError_tPvRmT1_T2_T3_mT4_P12ihipStream_tbEUlT_E1_NS1_11comp_targetILNS1_3genE3ELNS1_11target_archE908ELNS1_3gpuE7ELNS1_3repE0EEENS1_30default_config_static_selectorELNS0_4arch9wavefront6targetE1EEEvSF_.private_seg_size, 0
	.set _ZN7rocprim17ROCPRIM_400000_NS6detail17trampoline_kernelINS0_14default_configENS1_22reduce_config_selectorIfEEZNS1_11reduce_implILb1ES3_PfS7_fN6thrust23THRUST_200600_302600_NS4plusIfEEEE10hipError_tPvRmT1_T2_T3_mT4_P12ihipStream_tbEUlT_E1_NS1_11comp_targetILNS1_3genE3ELNS1_11target_archE908ELNS1_3gpuE7ELNS1_3repE0EEENS1_30default_config_static_selectorELNS0_4arch9wavefront6targetE1EEEvSF_.uses_vcc, 0
	.set _ZN7rocprim17ROCPRIM_400000_NS6detail17trampoline_kernelINS0_14default_configENS1_22reduce_config_selectorIfEEZNS1_11reduce_implILb1ES3_PfS7_fN6thrust23THRUST_200600_302600_NS4plusIfEEEE10hipError_tPvRmT1_T2_T3_mT4_P12ihipStream_tbEUlT_E1_NS1_11comp_targetILNS1_3genE3ELNS1_11target_archE908ELNS1_3gpuE7ELNS1_3repE0EEENS1_30default_config_static_selectorELNS0_4arch9wavefront6targetE1EEEvSF_.uses_flat_scratch, 0
	.set _ZN7rocprim17ROCPRIM_400000_NS6detail17trampoline_kernelINS0_14default_configENS1_22reduce_config_selectorIfEEZNS1_11reduce_implILb1ES3_PfS7_fN6thrust23THRUST_200600_302600_NS4plusIfEEEE10hipError_tPvRmT1_T2_T3_mT4_P12ihipStream_tbEUlT_E1_NS1_11comp_targetILNS1_3genE3ELNS1_11target_archE908ELNS1_3gpuE7ELNS1_3repE0EEENS1_30default_config_static_selectorELNS0_4arch9wavefront6targetE1EEEvSF_.has_dyn_sized_stack, 0
	.set _ZN7rocprim17ROCPRIM_400000_NS6detail17trampoline_kernelINS0_14default_configENS1_22reduce_config_selectorIfEEZNS1_11reduce_implILb1ES3_PfS7_fN6thrust23THRUST_200600_302600_NS4plusIfEEEE10hipError_tPvRmT1_T2_T3_mT4_P12ihipStream_tbEUlT_E1_NS1_11comp_targetILNS1_3genE3ELNS1_11target_archE908ELNS1_3gpuE7ELNS1_3repE0EEENS1_30default_config_static_selectorELNS0_4arch9wavefront6targetE1EEEvSF_.has_recursion, 0
	.set _ZN7rocprim17ROCPRIM_400000_NS6detail17trampoline_kernelINS0_14default_configENS1_22reduce_config_selectorIfEEZNS1_11reduce_implILb1ES3_PfS7_fN6thrust23THRUST_200600_302600_NS4plusIfEEEE10hipError_tPvRmT1_T2_T3_mT4_P12ihipStream_tbEUlT_E1_NS1_11comp_targetILNS1_3genE3ELNS1_11target_archE908ELNS1_3gpuE7ELNS1_3repE0EEENS1_30default_config_static_selectorELNS0_4arch9wavefront6targetE1EEEvSF_.has_indirect_call, 0
	.section	.AMDGPU.csdata,"",@progbits
; Kernel info:
; codeLenInByte = 0
; TotalNumSgprs: 4
; NumVgprs: 0
; ScratchSize: 0
; MemoryBound: 0
; FloatMode: 240
; IeeeMode: 1
; LDSByteSize: 0 bytes/workgroup (compile time only)
; SGPRBlocks: 0
; VGPRBlocks: 0
; NumSGPRsForWavesPerEU: 4
; NumVGPRsForWavesPerEU: 1
; Occupancy: 10
; WaveLimiterHint : 0
; COMPUTE_PGM_RSRC2:SCRATCH_EN: 0
; COMPUTE_PGM_RSRC2:USER_SGPR: 6
; COMPUTE_PGM_RSRC2:TRAP_HANDLER: 0
; COMPUTE_PGM_RSRC2:TGID_X_EN: 1
; COMPUTE_PGM_RSRC2:TGID_Y_EN: 0
; COMPUTE_PGM_RSRC2:TGID_Z_EN: 0
; COMPUTE_PGM_RSRC2:TIDIG_COMP_CNT: 0
	.section	.text._ZN7rocprim17ROCPRIM_400000_NS6detail17trampoline_kernelINS0_14default_configENS1_22reduce_config_selectorIfEEZNS1_11reduce_implILb1ES3_PfS7_fN6thrust23THRUST_200600_302600_NS4plusIfEEEE10hipError_tPvRmT1_T2_T3_mT4_P12ihipStream_tbEUlT_E1_NS1_11comp_targetILNS1_3genE2ELNS1_11target_archE906ELNS1_3gpuE6ELNS1_3repE0EEENS1_30default_config_static_selectorELNS0_4arch9wavefront6targetE1EEEvSF_,"axG",@progbits,_ZN7rocprim17ROCPRIM_400000_NS6detail17trampoline_kernelINS0_14default_configENS1_22reduce_config_selectorIfEEZNS1_11reduce_implILb1ES3_PfS7_fN6thrust23THRUST_200600_302600_NS4plusIfEEEE10hipError_tPvRmT1_T2_T3_mT4_P12ihipStream_tbEUlT_E1_NS1_11comp_targetILNS1_3genE2ELNS1_11target_archE906ELNS1_3gpuE6ELNS1_3repE0EEENS1_30default_config_static_selectorELNS0_4arch9wavefront6targetE1EEEvSF_,comdat
	.protected	_ZN7rocprim17ROCPRIM_400000_NS6detail17trampoline_kernelINS0_14default_configENS1_22reduce_config_selectorIfEEZNS1_11reduce_implILb1ES3_PfS7_fN6thrust23THRUST_200600_302600_NS4plusIfEEEE10hipError_tPvRmT1_T2_T3_mT4_P12ihipStream_tbEUlT_E1_NS1_11comp_targetILNS1_3genE2ELNS1_11target_archE906ELNS1_3gpuE6ELNS1_3repE0EEENS1_30default_config_static_selectorELNS0_4arch9wavefront6targetE1EEEvSF_ ; -- Begin function _ZN7rocprim17ROCPRIM_400000_NS6detail17trampoline_kernelINS0_14default_configENS1_22reduce_config_selectorIfEEZNS1_11reduce_implILb1ES3_PfS7_fN6thrust23THRUST_200600_302600_NS4plusIfEEEE10hipError_tPvRmT1_T2_T3_mT4_P12ihipStream_tbEUlT_E1_NS1_11comp_targetILNS1_3genE2ELNS1_11target_archE906ELNS1_3gpuE6ELNS1_3repE0EEENS1_30default_config_static_selectorELNS0_4arch9wavefront6targetE1EEEvSF_
	.globl	_ZN7rocprim17ROCPRIM_400000_NS6detail17trampoline_kernelINS0_14default_configENS1_22reduce_config_selectorIfEEZNS1_11reduce_implILb1ES3_PfS7_fN6thrust23THRUST_200600_302600_NS4plusIfEEEE10hipError_tPvRmT1_T2_T3_mT4_P12ihipStream_tbEUlT_E1_NS1_11comp_targetILNS1_3genE2ELNS1_11target_archE906ELNS1_3gpuE6ELNS1_3repE0EEENS1_30default_config_static_selectorELNS0_4arch9wavefront6targetE1EEEvSF_
	.p2align	8
	.type	_ZN7rocprim17ROCPRIM_400000_NS6detail17trampoline_kernelINS0_14default_configENS1_22reduce_config_selectorIfEEZNS1_11reduce_implILb1ES3_PfS7_fN6thrust23THRUST_200600_302600_NS4plusIfEEEE10hipError_tPvRmT1_T2_T3_mT4_P12ihipStream_tbEUlT_E1_NS1_11comp_targetILNS1_3genE2ELNS1_11target_archE906ELNS1_3gpuE6ELNS1_3repE0EEENS1_30default_config_static_selectorELNS0_4arch9wavefront6targetE1EEEvSF_,@function
_ZN7rocprim17ROCPRIM_400000_NS6detail17trampoline_kernelINS0_14default_configENS1_22reduce_config_selectorIfEEZNS1_11reduce_implILb1ES3_PfS7_fN6thrust23THRUST_200600_302600_NS4plusIfEEEE10hipError_tPvRmT1_T2_T3_mT4_P12ihipStream_tbEUlT_E1_NS1_11comp_targetILNS1_3genE2ELNS1_11target_archE906ELNS1_3gpuE6ELNS1_3repE0EEENS1_30default_config_static_selectorELNS0_4arch9wavefront6targetE1EEEvSF_: ; @_ZN7rocprim17ROCPRIM_400000_NS6detail17trampoline_kernelINS0_14default_configENS1_22reduce_config_selectorIfEEZNS1_11reduce_implILb1ES3_PfS7_fN6thrust23THRUST_200600_302600_NS4plusIfEEEE10hipError_tPvRmT1_T2_T3_mT4_P12ihipStream_tbEUlT_E1_NS1_11comp_targetILNS1_3genE2ELNS1_11target_archE906ELNS1_3gpuE6ELNS1_3repE0EEENS1_30default_config_static_selectorELNS0_4arch9wavefront6targetE1EEEvSF_
; %bb.0:
	s_load_dword s33, s[4:5], 0x4
	s_load_dwordx4 s[68:71], s[4:5], 0x8
	s_waitcnt lgkmcnt(0)
	s_cmp_lt_i32 s33, 8
	s_cbranch_scc1 .LBB13_11
; %bb.1:
	s_cmp_gt_i32 s33, 15
	s_cbranch_scc0 .LBB13_12
; %bb.2:
	s_cmp_gt_i32 s33, 31
	s_cbranch_scc0 .LBB13_13
; %bb.3:
	s_cmp_eq_u32 s33, 32
	s_mov_b64 s[66:67], 0
	s_cbranch_scc0 .LBB13_14
; %bb.4:
	s_mov_b32 s7, 0
	s_lshl_b32 s0, s6, 13
	s_mov_b32 s1, s7
	s_lshr_b64 s[2:3], s[70:71], 13
	s_lshl_b64 s[8:9], s[0:1], 2
	s_add_u32 s72, s68, s8
	s_addc_u32 s73, s69, s9
	s_cmp_lg_u64 s[2:3], s[6:7]
	s_cbranch_scc0 .LBB13_23
; %bb.5:
	v_lshlrev_b32_e32 v7, 2, v0
	v_mov_b32_e32 v1, s73
	v_add_co_u32_e32 v8, vcc, s72, v7
	v_addc_co_u32_e32 v9, vcc, 0, v1, vcc
	v_add_co_u32_e32 v1, vcc, 0x1000, v8
	v_addc_co_u32_e32 v2, vcc, 0, v9, vcc
	;; [unrolled: 2-line block ×4, first 2 shown]
	global_load_dword v10, v[3:4], off
	global_load_dword v11, v[3:4], off offset:1024
	global_load_dword v12, v[3:4], off offset:2048
	;; [unrolled: 1-line block ×3, first 2 shown]
	global_load_dword v14, v[5:6], off
	global_load_dword v15, v[5:6], off offset:1024
	global_load_dword v16, v[5:6], off offset:2048
	;; [unrolled: 1-line block ×3, first 2 shown]
	v_add_co_u32_e32 v3, vcc, 0x4000, v8
	v_addc_co_u32_e32 v4, vcc, 0, v9, vcc
	v_add_co_u32_e32 v5, vcc, 0x5000, v8
	v_addc_co_u32_e32 v6, vcc, 0, v9, vcc
	global_load_dword v18, v[3:4], off
	global_load_dword v19, v[3:4], off offset:1024
	global_load_dword v20, v[3:4], off offset:2048
	;; [unrolled: 1-line block ×3, first 2 shown]
	global_load_dword v22, v[5:6], off
	global_load_dword v23, v[5:6], off offset:1024
	global_load_dword v24, v[5:6], off offset:2048
	global_load_dword v25, v[5:6], off offset:3072
	v_add_co_u32_e32 v3, vcc, 0x6000, v8
	v_addc_co_u32_e32 v4, vcc, 0, v9, vcc
	v_add_co_u32_e32 v5, vcc, 0x7000, v8
	v_addc_co_u32_e32 v6, vcc, 0, v9, vcc
	global_load_dword v8, v[3:4], off
	global_load_dword v9, v[3:4], off offset:1024
	global_load_dword v26, v[3:4], off offset:2048
	;; [unrolled: 1-line block ×3, first 2 shown]
	global_load_dword v28, v[5:6], off
	global_load_dword v29, v[5:6], off offset:1024
	global_load_dword v30, v[5:6], off offset:2048
	;; [unrolled: 1-line block ×3, first 2 shown]
	global_load_dword v32, v7, s[72:73]
	global_load_dword v33, v[1:2], off
	global_load_dword v34, v[1:2], off offset:1024
	global_load_dword v35, v[1:2], off offset:2048
	;; [unrolled: 1-line block ×3, first 2 shown]
	global_load_dword v37, v7, s[72:73] offset:1024
	global_load_dword v38, v7, s[72:73] offset:2048
                                        ; kill: killed $vgpr5 killed $vgpr6
                                        ; kill: killed $vgpr1 killed $vgpr2
                                        ; kill: killed $vgpr3 killed $vgpr4
	s_nop 0
	global_load_dword v1, v7, s[72:73] offset:3072
	s_waitcnt vmcnt(2)
	v_add_f32_e32 v2, v32, v37
	s_waitcnt vmcnt(1)
	v_add_f32_e32 v3, v2, v38
	v_mbcnt_lo_u32_b32 v2, -1, 0
	v_mbcnt_hi_u32_b32 v2, -1, v2
	v_cmp_eq_u32_e32 vcc, 0, v2
	s_waitcnt vmcnt(0)
	v_add_f32_e32 v1, v3, v1
	v_add_f32_e32 v1, v1, v33
	;; [unrolled: 1-line block ×29, first 2 shown]
	v_lshlrev_b32_e32 v3, 2, v2
	v_or_b32_e32 v4, 0xfc, v3
	v_add_f32_dpp v1, v1, v1 quad_perm:[1,0,3,2] row_mask:0xf bank_mask:0xf bound_ctrl:1
	s_nop 1
	v_add_f32_dpp v1, v1, v1 quad_perm:[2,3,0,1] row_mask:0xf bank_mask:0xf bound_ctrl:1
	s_nop 1
	v_add_f32_dpp v1, v1, v1 row_ror:4 row_mask:0xf bank_mask:0xf bound_ctrl:1
	s_nop 1
	v_add_f32_dpp v1, v1, v1 row_ror:8 row_mask:0xf bank_mask:0xf bound_ctrl:1
	s_nop 1
	v_add_f32_dpp v1, v1, v1 row_bcast:15 row_mask:0xf bank_mask:0xf bound_ctrl:1
	s_nop 1
	v_add_f32_dpp v1, v1, v1 row_bcast:31 row_mask:0xf bank_mask:0xf bound_ctrl:1
	ds_bpermute_b32 v1, v4, v1
	s_and_saveexec_b64 s[2:3], vcc
	s_cbranch_execz .LBB13_7
; %bb.6:
	v_lshrrev_b32_e32 v4, 4, v0
	v_and_b32_e32 v4, 12, v4
	s_waitcnt lgkmcnt(0)
	ds_write_b32 v4, v1 offset:48
.LBB13_7:
	s_or_b64 exec, exec, s[2:3]
	v_cmp_gt_u32_e32 vcc, 64, v0
	s_waitcnt lgkmcnt(0)
	s_barrier
	s_and_saveexec_b64 s[2:3], vcc
	s_cbranch_execz .LBB13_9
; %bb.8:
	v_and_b32_e32 v1, 3, v2
	v_lshlrev_b32_e32 v4, 2, v1
	ds_read_b32 v4, v4 offset:48
	v_cmp_ne_u32_e32 vcc, 3, v1
	v_addc_co_u32_e32 v1, vcc, 0, v2, vcc
	v_lshlrev_b32_e32 v1, 2, v1
	s_waitcnt lgkmcnt(0)
	ds_bpermute_b32 v1, v1, v4
	v_or_b32_e32 v2, 8, v3
	s_waitcnt lgkmcnt(0)
	v_add_f32_e32 v1, v4, v1
	ds_bpermute_b32 v2, v2, v1
	s_waitcnt lgkmcnt(0)
	v_add_f32_e32 v1, v1, v2
.LBB13_9:
	s_or_b64 exec, exec, s[2:3]
.LBB13_10:
	v_cmp_eq_u32_e64 s[0:1], 0, v0
	s_and_b64 vcc, exec, s[66:67]
	s_cbranch_vccnz .LBB13_15
	s_branch .LBB13_93
.LBB13_11:
	s_mov_b64 s[0:1], 0
                                        ; implicit-def: $vgpr1
	s_cbranch_execnz .LBB13_166
	s_branch .LBB13_224
.LBB13_12:
	s_mov_b64 s[0:1], 0
                                        ; implicit-def: $vgpr1
	s_cbranch_execnz .LBB13_134
	s_branch .LBB13_142
.LBB13_13:
	s_mov_b64 s[66:67], -1
.LBB13_14:
	s_mov_b64 s[0:1], 0
                                        ; implicit-def: $vgpr1
	s_and_b64 vcc, exec, s[66:67]
	s_cbranch_vccz .LBB13_93
.LBB13_15:
	s_cmp_eq_u32 s33, 16
	s_cbranch_scc0 .LBB13_22
; %bb.16:
	s_mov_b32 s7, 0
	s_lshl_b32 s0, s6, 12
	s_mov_b32 s1, s7
	s_lshr_b64 s[2:3], s[70:71], 12
	s_lshl_b64 s[8:9], s[0:1], 2
	s_add_u32 s34, s68, s8
	s_addc_u32 s35, s69, s9
	s_cmp_lg_u64 s[2:3], s[6:7]
	s_cbranch_scc0 .LBB13_94
; %bb.17:
	v_lshlrev_b32_e32 v3, 2, v0
	v_mov_b32_e32 v1, s35
	v_add_co_u32_e32 v4, vcc, s34, v3
	v_addc_co_u32_e32 v5, vcc, 0, v1, vcc
	v_add_co_u32_e32 v1, vcc, 0x1000, v4
	v_addc_co_u32_e32 v2, vcc, 0, v5, vcc
	global_load_dword v6, v3, s[34:35]
	global_load_dword v7, v3, s[34:35] offset:1024
	global_load_dword v8, v3, s[34:35] offset:2048
	;; [unrolled: 1-line block ×3, first 2 shown]
	global_load_dword v10, v[1:2], off
	global_load_dword v11, v[1:2], off offset:1024
	global_load_dword v12, v[1:2], off offset:2048
	;; [unrolled: 1-line block ×3, first 2 shown]
	v_add_co_u32_e32 v1, vcc, 0x2000, v4
	v_addc_co_u32_e32 v2, vcc, 0, v5, vcc
	v_add_co_u32_e32 v3, vcc, 0x3000, v4
	v_addc_co_u32_e32 v4, vcc, 0, v5, vcc
	global_load_dword v5, v[1:2], off
	global_load_dword v14, v[1:2], off offset:1024
	global_load_dword v15, v[1:2], off offset:2048
	;; [unrolled: 1-line block ×3, first 2 shown]
	global_load_dword v17, v[3:4], off
	global_load_dword v18, v[3:4], off offset:1024
	global_load_dword v19, v[3:4], off offset:2048
	;; [unrolled: 1-line block ×3, first 2 shown]
	v_mbcnt_lo_u32_b32 v1, -1, 0
	v_mbcnt_hi_u32_b32 v2, -1, v1
	v_lshlrev_b32_e32 v3, 2, v2
	v_or_b32_e32 v4, 0xfc, v3
	v_cmp_eq_u32_e32 vcc, 0, v2
	s_waitcnt vmcnt(14)
	v_add_f32_e32 v1, v6, v7
	s_waitcnt vmcnt(13)
	v_add_f32_e32 v1, v1, v8
	;; [unrolled: 2-line block ×15, first 2 shown]
	s_nop 1
	v_add_f32_dpp v1, v1, v1 quad_perm:[1,0,3,2] row_mask:0xf bank_mask:0xf bound_ctrl:1
	s_nop 1
	v_add_f32_dpp v1, v1, v1 quad_perm:[2,3,0,1] row_mask:0xf bank_mask:0xf bound_ctrl:1
	s_nop 1
	v_add_f32_dpp v1, v1, v1 row_ror:4 row_mask:0xf bank_mask:0xf bound_ctrl:1
	s_nop 1
	v_add_f32_dpp v1, v1, v1 row_ror:8 row_mask:0xf bank_mask:0xf bound_ctrl:1
	s_nop 1
	v_add_f32_dpp v1, v1, v1 row_bcast:15 row_mask:0xf bank_mask:0xf bound_ctrl:1
	s_nop 1
	v_add_f32_dpp v1, v1, v1 row_bcast:31 row_mask:0xf bank_mask:0xf bound_ctrl:1
	ds_bpermute_b32 v1, v4, v1
	s_and_saveexec_b64 s[2:3], vcc
	s_cbranch_execz .LBB13_19
; %bb.18:
	v_lshrrev_b32_e32 v4, 4, v0
	v_and_b32_e32 v4, 12, v4
	s_waitcnt lgkmcnt(0)
	ds_write_b32 v4, v1
.LBB13_19:
	s_or_b64 exec, exec, s[2:3]
	v_cmp_gt_u32_e32 vcc, 64, v0
	s_waitcnt lgkmcnt(0)
	s_barrier
	s_and_saveexec_b64 s[2:3], vcc
	s_cbranch_execz .LBB13_21
; %bb.20:
	v_and_b32_e32 v1, 3, v2
	v_lshlrev_b32_e32 v4, 2, v1
	ds_read_b32 v4, v4
	v_cmp_ne_u32_e32 vcc, 3, v1
	v_addc_co_u32_e32 v1, vcc, 0, v2, vcc
	v_lshlrev_b32_e32 v1, 2, v1
	s_waitcnt lgkmcnt(0)
	ds_bpermute_b32 v1, v1, v4
	v_or_b32_e32 v2, 8, v3
	s_waitcnt lgkmcnt(0)
	v_add_f32_e32 v1, v4, v1
	ds_bpermute_b32 v2, v2, v1
	s_waitcnt lgkmcnt(0)
	v_add_f32_e32 v1, v1, v2
.LBB13_21:
	s_or_b64 exec, exec, s[2:3]
	s_mov_b64 s[2:3], 0
	s_branch .LBB13_95
.LBB13_22:
                                        ; implicit-def: $vgpr1
	s_branch .LBB13_142
.LBB13_23:
                                        ; implicit-def: $vgpr1
	s_cbranch_execz .LBB13_10
; %bb.24:
	s_sub_i32 s76, s70, s0
	v_cmp_gt_u32_e32 vcc, s76, v0
                                        ; implicit-def: $vgpr1
	s_and_saveexec_b64 s[0:1], vcc
	s_cbranch_execz .LBB13_26
; %bb.25:
	v_lshlrev_b32_e32 v1, 2, v0
	global_load_dword v1, v1, s[72:73]
.LBB13_26:
	s_or_b64 exec, exec, s[0:1]
	v_or_b32_e32 v2, 0x100, v0
	v_cmp_gt_u32_e32 vcc, s76, v2
                                        ; implicit-def: $vgpr2
	s_and_saveexec_b64 s[0:1], vcc
	s_cbranch_execz .LBB13_28
; %bb.27:
	v_lshlrev_b32_e32 v2, 2, v0
	global_load_dword v2, v2, s[72:73] offset:1024
.LBB13_28:
	s_or_b64 exec, exec, s[0:1]
	v_or_b32_e32 v3, 0x200, v0
	v_cmp_gt_u32_e64 s[0:1], s76, v3
                                        ; implicit-def: $vgpr3
	s_and_saveexec_b64 s[2:3], s[0:1]
	s_cbranch_execz .LBB13_30
; %bb.29:
	v_lshlrev_b32_e32 v3, 2, v0
	global_load_dword v3, v3, s[72:73] offset:2048
.LBB13_30:
	s_or_b64 exec, exec, s[2:3]
	v_or_b32_e32 v4, 0x300, v0
	v_cmp_gt_u32_e64 s[2:3], s76, v4
                                        ; implicit-def: $vgpr4
	s_and_saveexec_b64 s[8:9], s[2:3]
	s_cbranch_execz .LBB13_32
; %bb.31:
	v_lshlrev_b32_e32 v4, 2, v0
	global_load_dword v4, v4, s[72:73] offset:3072
.LBB13_32:
	s_or_b64 exec, exec, s[8:9]
	v_or_b32_e32 v6, 0x400, v0
	v_cmp_gt_u32_e64 s[8:9], s76, v6
                                        ; implicit-def: $vgpr5
	s_and_saveexec_b64 s[10:11], s[8:9]
	s_cbranch_execz .LBB13_34
; %bb.33:
	v_lshlrev_b32_e32 v5, 2, v6
	global_load_dword v5, v5, s[72:73]
.LBB13_34:
	s_or_b64 exec, exec, s[10:11]
	v_or_b32_e32 v7, 0x500, v0
	v_cmp_gt_u32_e64 s[10:11], s76, v7
                                        ; implicit-def: $vgpr6
	s_and_saveexec_b64 s[12:13], s[10:11]
	s_cbranch_execz .LBB13_36
; %bb.35:
	v_lshlrev_b32_e32 v6, 2, v7
	global_load_dword v6, v6, s[72:73]
.LBB13_36:
	s_or_b64 exec, exec, s[12:13]
	v_or_b32_e32 v8, 0x600, v0
	v_cmp_gt_u32_e64 s[12:13], s76, v8
                                        ; implicit-def: $vgpr7
	s_and_saveexec_b64 s[14:15], s[12:13]
	s_cbranch_execz .LBB13_38
; %bb.37:
	v_lshlrev_b32_e32 v7, 2, v8
	global_load_dword v7, v7, s[72:73]
.LBB13_38:
	s_or_b64 exec, exec, s[14:15]
	v_or_b32_e32 v9, 0x700, v0
	v_cmp_gt_u32_e64 s[14:15], s76, v9
                                        ; implicit-def: $vgpr8
	s_and_saveexec_b64 s[16:17], s[14:15]
	s_cbranch_execz .LBB13_40
; %bb.39:
	v_lshlrev_b32_e32 v8, 2, v9
	global_load_dword v8, v8, s[72:73]
.LBB13_40:
	s_or_b64 exec, exec, s[16:17]
	v_or_b32_e32 v10, 0x800, v0
	v_cmp_gt_u32_e64 s[16:17], s76, v10
                                        ; implicit-def: $vgpr9
	s_and_saveexec_b64 s[18:19], s[16:17]
	s_cbranch_execz .LBB13_42
; %bb.41:
	v_lshlrev_b32_e32 v9, 2, v10
	global_load_dword v9, v9, s[72:73]
.LBB13_42:
	s_or_b64 exec, exec, s[18:19]
	v_or_b32_e32 v11, 0x900, v0
	v_cmp_gt_u32_e64 s[18:19], s76, v11
                                        ; implicit-def: $vgpr10
	s_and_saveexec_b64 s[20:21], s[18:19]
	s_cbranch_execz .LBB13_44
; %bb.43:
	v_lshlrev_b32_e32 v10, 2, v11
	global_load_dword v10, v10, s[72:73]
.LBB13_44:
	s_or_b64 exec, exec, s[20:21]
	v_or_b32_e32 v12, 0xa00, v0
	v_cmp_gt_u32_e64 s[20:21], s76, v12
                                        ; implicit-def: $vgpr11
	s_and_saveexec_b64 s[22:23], s[20:21]
	s_cbranch_execz .LBB13_46
; %bb.45:
	v_lshlrev_b32_e32 v11, 2, v12
	global_load_dword v11, v11, s[72:73]
.LBB13_46:
	s_or_b64 exec, exec, s[22:23]
	v_or_b32_e32 v13, 0xb00, v0
	v_cmp_gt_u32_e64 s[22:23], s76, v13
                                        ; implicit-def: $vgpr12
	s_and_saveexec_b64 s[24:25], s[22:23]
	s_cbranch_execz .LBB13_48
; %bb.47:
	v_lshlrev_b32_e32 v12, 2, v13
	global_load_dword v12, v12, s[72:73]
.LBB13_48:
	s_or_b64 exec, exec, s[24:25]
	v_or_b32_e32 v14, 0xc00, v0
	v_cmp_gt_u32_e64 s[24:25], s76, v14
                                        ; implicit-def: $vgpr13
	s_and_saveexec_b64 s[26:27], s[24:25]
	s_cbranch_execz .LBB13_50
; %bb.49:
	v_lshlrev_b32_e32 v13, 2, v14
	global_load_dword v13, v13, s[72:73]
.LBB13_50:
	s_or_b64 exec, exec, s[26:27]
	v_or_b32_e32 v15, 0xd00, v0
	v_cmp_gt_u32_e64 s[26:27], s76, v15
                                        ; implicit-def: $vgpr14
	s_and_saveexec_b64 s[28:29], s[26:27]
	s_cbranch_execz .LBB13_52
; %bb.51:
	v_lshlrev_b32_e32 v14, 2, v15
	global_load_dword v14, v14, s[72:73]
.LBB13_52:
	s_or_b64 exec, exec, s[28:29]
	v_or_b32_e32 v16, 0xe00, v0
	v_cmp_gt_u32_e64 s[28:29], s76, v16
                                        ; implicit-def: $vgpr15
	s_and_saveexec_b64 s[30:31], s[28:29]
	s_cbranch_execz .LBB13_54
; %bb.53:
	v_lshlrev_b32_e32 v15, 2, v16
	global_load_dword v15, v15, s[72:73]
.LBB13_54:
	s_or_b64 exec, exec, s[30:31]
	v_or_b32_e32 v17, 0xf00, v0
	v_cmp_gt_u32_e64 s[30:31], s76, v17
                                        ; implicit-def: $vgpr16
	s_and_saveexec_b64 s[34:35], s[30:31]
	s_cbranch_execz .LBB13_56
; %bb.55:
	v_lshlrev_b32_e32 v16, 2, v17
	global_load_dword v16, v16, s[72:73]
.LBB13_56:
	s_or_b64 exec, exec, s[34:35]
	v_or_b32_e32 v18, 0x1000, v0
	v_cmp_gt_u32_e64 s[34:35], s76, v18
                                        ; implicit-def: $vgpr17
	s_and_saveexec_b64 s[36:37], s[34:35]
	s_cbranch_execz .LBB13_58
; %bb.57:
	v_lshlrev_b32_e32 v17, 2, v18
	global_load_dword v17, v17, s[72:73]
.LBB13_58:
	s_or_b64 exec, exec, s[36:37]
	v_or_b32_e32 v19, 0x1100, v0
	v_cmp_gt_u32_e64 s[36:37], s76, v19
                                        ; implicit-def: $vgpr18
	s_and_saveexec_b64 s[38:39], s[36:37]
	s_cbranch_execz .LBB13_60
; %bb.59:
	v_lshlrev_b32_e32 v18, 2, v19
	global_load_dword v18, v18, s[72:73]
.LBB13_60:
	s_or_b64 exec, exec, s[38:39]
	v_or_b32_e32 v20, 0x1200, v0
	v_cmp_gt_u32_e64 s[38:39], s76, v20
                                        ; implicit-def: $vgpr19
	s_and_saveexec_b64 s[40:41], s[38:39]
	s_cbranch_execz .LBB13_62
; %bb.61:
	v_lshlrev_b32_e32 v19, 2, v20
	global_load_dword v19, v19, s[72:73]
.LBB13_62:
	s_or_b64 exec, exec, s[40:41]
	v_or_b32_e32 v21, 0x1300, v0
	v_cmp_gt_u32_e64 s[40:41], s76, v21
                                        ; implicit-def: $vgpr20
	s_and_saveexec_b64 s[42:43], s[40:41]
	s_cbranch_execz .LBB13_64
; %bb.63:
	v_lshlrev_b32_e32 v20, 2, v21
	global_load_dword v20, v20, s[72:73]
.LBB13_64:
	s_or_b64 exec, exec, s[42:43]
	v_or_b32_e32 v22, 0x1400, v0
	v_cmp_gt_u32_e64 s[42:43], s76, v22
                                        ; implicit-def: $vgpr21
	s_and_saveexec_b64 s[44:45], s[42:43]
	s_cbranch_execz .LBB13_66
; %bb.65:
	v_lshlrev_b32_e32 v21, 2, v22
	global_load_dword v21, v21, s[72:73]
.LBB13_66:
	s_or_b64 exec, exec, s[44:45]
	v_or_b32_e32 v23, 0x1500, v0
	v_cmp_gt_u32_e64 s[44:45], s76, v23
                                        ; implicit-def: $vgpr22
	s_and_saveexec_b64 s[46:47], s[44:45]
	s_cbranch_execz .LBB13_68
; %bb.67:
	v_lshlrev_b32_e32 v22, 2, v23
	global_load_dword v22, v22, s[72:73]
.LBB13_68:
	s_or_b64 exec, exec, s[46:47]
	v_or_b32_e32 v24, 0x1600, v0
	v_cmp_gt_u32_e64 s[46:47], s76, v24
                                        ; implicit-def: $vgpr23
	s_and_saveexec_b64 s[48:49], s[46:47]
	s_cbranch_execz .LBB13_70
; %bb.69:
	v_lshlrev_b32_e32 v23, 2, v24
	global_load_dword v23, v23, s[72:73]
.LBB13_70:
	s_or_b64 exec, exec, s[48:49]
	v_or_b32_e32 v25, 0x1700, v0
	v_cmp_gt_u32_e64 s[48:49], s76, v25
                                        ; implicit-def: $vgpr24
	s_and_saveexec_b64 s[50:51], s[48:49]
	s_cbranch_execz .LBB13_72
; %bb.71:
	v_lshlrev_b32_e32 v24, 2, v25
	global_load_dword v24, v24, s[72:73]
.LBB13_72:
	s_or_b64 exec, exec, s[50:51]
	v_or_b32_e32 v26, 0x1800, v0
	v_cmp_gt_u32_e64 s[50:51], s76, v26
                                        ; implicit-def: $vgpr25
	s_and_saveexec_b64 s[52:53], s[50:51]
	s_cbranch_execz .LBB13_74
; %bb.73:
	v_lshlrev_b32_e32 v25, 2, v26
	global_load_dword v25, v25, s[72:73]
.LBB13_74:
	s_or_b64 exec, exec, s[52:53]
	v_or_b32_e32 v27, 0x1900, v0
	v_cmp_gt_u32_e64 s[52:53], s76, v27
                                        ; implicit-def: $vgpr26
	s_and_saveexec_b64 s[54:55], s[52:53]
	s_cbranch_execz .LBB13_76
; %bb.75:
	v_lshlrev_b32_e32 v26, 2, v27
	global_load_dword v26, v26, s[72:73]
.LBB13_76:
	s_or_b64 exec, exec, s[54:55]
	v_or_b32_e32 v28, 0x1a00, v0
	v_cmp_gt_u32_e64 s[54:55], s76, v28
                                        ; implicit-def: $vgpr27
	s_and_saveexec_b64 s[56:57], s[54:55]
	s_cbranch_execz .LBB13_78
; %bb.77:
	v_lshlrev_b32_e32 v27, 2, v28
	global_load_dword v27, v27, s[72:73]
.LBB13_78:
	s_or_b64 exec, exec, s[56:57]
	v_or_b32_e32 v29, 0x1b00, v0
	v_cmp_gt_u32_e64 s[56:57], s76, v29
                                        ; implicit-def: $vgpr28
	s_and_saveexec_b64 s[58:59], s[56:57]
	s_cbranch_execz .LBB13_80
; %bb.79:
	v_lshlrev_b32_e32 v28, 2, v29
	global_load_dword v28, v28, s[72:73]
.LBB13_80:
	s_or_b64 exec, exec, s[58:59]
	v_or_b32_e32 v30, 0x1c00, v0
	v_cmp_gt_u32_e64 s[58:59], s76, v30
                                        ; implicit-def: $vgpr29
	s_and_saveexec_b64 s[60:61], s[58:59]
	s_cbranch_execz .LBB13_82
; %bb.81:
	v_lshlrev_b32_e32 v29, 2, v30
	global_load_dword v29, v29, s[72:73]
.LBB13_82:
	s_or_b64 exec, exec, s[60:61]
	v_or_b32_e32 v31, 0x1d00, v0
	v_cmp_gt_u32_e64 s[60:61], s76, v31
                                        ; implicit-def: $vgpr30
	s_and_saveexec_b64 s[62:63], s[60:61]
	s_cbranch_execz .LBB13_84
; %bb.83:
	v_lshlrev_b32_e32 v30, 2, v31
	global_load_dword v30, v30, s[72:73]
.LBB13_84:
	s_or_b64 exec, exec, s[62:63]
	v_or_b32_e32 v32, 0x1e00, v0
	v_cmp_gt_u32_e64 s[62:63], s76, v32
                                        ; implicit-def: $vgpr31
	s_and_saveexec_b64 s[64:65], s[62:63]
	s_cbranch_execz .LBB13_86
; %bb.85:
	v_lshlrev_b32_e32 v31, 2, v32
	global_load_dword v31, v31, s[72:73]
.LBB13_86:
	s_or_b64 exec, exec, s[64:65]
	v_or_b32_e32 v33, 0x1f00, v0
	v_cmp_gt_u32_e64 s[64:65], s76, v33
                                        ; implicit-def: $vgpr32
	s_and_saveexec_b64 s[74:75], s[64:65]
	s_cbranch_execz .LBB13_88
; %bb.87:
	v_lshlrev_b32_e32 v32, 2, v33
	global_load_dword v32, v32, s[72:73]
.LBB13_88:
	s_or_b64 exec, exec, s[74:75]
	s_waitcnt vmcnt(0)
	v_add_f32_e32 v2, v1, v2
	v_cndmask_b32_e32 v1, v1, v2, vcc
	v_add_f32_e32 v2, v1, v3
	v_cndmask_b32_e64 v1, v1, v2, s[0:1]
	v_add_f32_e32 v2, v1, v4
	v_cndmask_b32_e64 v1, v1, v2, s[2:3]
	;; [unrolled: 2-line block ×30, first 2 shown]
	v_mbcnt_lo_u32_b32 v2, -1, 0
	v_mbcnt_hi_u32_b32 v2, -1, v2
	v_and_b32_e32 v4, 63, v2
	v_cmp_ne_u32_e32 vcc, 63, v4
	v_addc_co_u32_e32 v3, vcc, 0, v2, vcc
	v_lshlrev_b32_e32 v3, 2, v3
	ds_bpermute_b32 v3, v3, v1
	s_min_u32 s8, s76, 0x100
	v_and_b32_e32 v5, 0xc0, v0
	v_sub_u32_e64 v5, s8, v5 clamp
	v_add_u32_e32 v6, 1, v4
	v_cmp_gt_u32_e64 s[0:1], 62, v4
	s_waitcnt lgkmcnt(0)
	v_add_f32_e32 v3, v1, v3
	v_cmp_lt_u32_e32 vcc, v6, v5
	v_cndmask_b32_e64 v6, 0, 2, s[0:1]
	v_cndmask_b32_e32 v3, v1, v3, vcc
	v_add_lshl_u32 v6, v6, v2, 2
	ds_bpermute_b32 v6, v6, v3
	v_add_u32_e32 v7, 2, v4
	v_cmp_lt_u32_e64 s[0:1], v7, v5
	v_add_u32_e32 v7, 4, v4
	s_waitcnt lgkmcnt(0)
	v_add_f32_e32 v6, v3, v6
	v_cndmask_b32_e64 v3, v3, v6, s[0:1]
	v_cmp_gt_u32_e64 s[0:1], 60, v4
	v_cndmask_b32_e64 v6, 0, 4, s[0:1]
	v_add_lshl_u32 v6, v6, v2, 2
	ds_bpermute_b32 v6, v6, v3
	v_cmp_lt_u32_e64 s[0:1], v7, v5
	v_add_u32_e32 v7, 8, v4
	s_waitcnt lgkmcnt(0)
	v_add_f32_e32 v6, v3, v6
	v_cndmask_b32_e64 v3, v3, v6, s[0:1]
	v_cmp_gt_u32_e64 s[0:1], 56, v4
	v_cndmask_b32_e64 v6, 0, 8, s[0:1]
	v_add_lshl_u32 v6, v6, v2, 2
	ds_bpermute_b32 v6, v6, v3
	;; [unrolled: 9-line block ×3, first 2 shown]
	v_cmp_lt_u32_e64 s[0:1], v7, v5
	v_add_u32_e32 v4, 32, v4
	s_waitcnt lgkmcnt(0)
	v_add_f32_e32 v6, v3, v6
	v_cndmask_b32_e64 v6, v3, v6, s[0:1]
	v_lshlrev_b32_e32 v3, 2, v2
	v_or_b32_e32 v7, 0x80, v3
	ds_bpermute_b32 v7, v7, v6
	v_cmp_lt_u32_e64 s[0:1], v4, v5
	s_waitcnt lgkmcnt(0)
	v_add_f32_e32 v7, v6, v7
	v_cndmask_b32_e64 v4, v6, v7, s[0:1]
	v_cndmask_b32_e32 v1, v1, v4, vcc
	v_cmp_eq_u32_e32 vcc, 0, v2
	s_and_saveexec_b64 s[0:1], vcc
; %bb.89:
	v_lshrrev_b32_e32 v4, 4, v0
	v_and_b32_e32 v4, 12, v4
	ds_write_b32 v4, v1 offset:96
; %bb.90:
	s_or_b64 exec, exec, s[0:1]
	v_cmp_gt_u32_e32 vcc, 4, v0
	s_waitcnt lgkmcnt(0)
	s_barrier
	s_and_saveexec_b64 s[2:3], vcc
	s_cbranch_execz .LBB13_92
; %bb.91:
	ds_read_b32 v1, v3 offset:96
	v_and_b32_e32 v4, 3, v2
	v_cmp_ne_u32_e32 vcc, 3, v4
	v_addc_co_u32_e32 v2, vcc, 0, v2, vcc
	v_lshlrev_b32_e32 v2, 2, v2
	s_waitcnt lgkmcnt(0)
	ds_bpermute_b32 v2, v2, v1
	s_add_i32 s8, s8, 63
	s_lshr_b32 s0, s8, 6
	v_add_u32_e32 v5, 1, v4
	v_cmp_gt_u32_e32 vcc, s0, v5
	s_waitcnt lgkmcnt(0)
	v_add_f32_e32 v2, v1, v2
	v_cndmask_b32_e32 v2, v1, v2, vcc
	v_or_b32_e32 v3, 8, v3
	ds_bpermute_b32 v3, v3, v2
	v_add_u32_e32 v4, 2, v4
	v_cmp_gt_u32_e64 s[0:1], s0, v4
	s_waitcnt lgkmcnt(0)
	v_add_f32_e32 v3, v2, v3
	v_cndmask_b32_e64 v2, v2, v3, s[0:1]
	v_cndmask_b32_e32 v1, v1, v2, vcc
.LBB13_92:
	s_or_b64 exec, exec, s[2:3]
	v_cmp_eq_u32_e64 s[0:1], 0, v0
	s_and_b64 vcc, exec, s[66:67]
	s_cbranch_vccnz .LBB13_15
.LBB13_93:
	s_branch .LBB13_142
.LBB13_94:
	s_mov_b64 s[2:3], -1
                                        ; implicit-def: $vgpr1
.LBB13_95:
	s_and_b64 vcc, exec, s[2:3]
	s_cbranch_vccz .LBB13_133
; %bb.96:
	s_sub_i32 s38, s70, s0
	v_mov_b32_e32 v1, 0
	v_cmp_gt_u32_e32 vcc, s38, v0
	v_mov_b32_e32 v2, v1
	v_mov_b32_e32 v3, v1
	;; [unrolled: 1-line block ×15, first 2 shown]
	s_and_saveexec_b64 s[0:1], vcc
	s_cbranch_execz .LBB13_98
; %bb.97:
	v_mov_b32_e32 v2, v1
	v_mov_b32_e32 v3, v1
	;; [unrolled: 1-line block ×15, first 2 shown]
	v_lshlrev_b32_e32 v1, 2, v0
	global_load_dword v1, v1, s[34:35]
.LBB13_98:
	s_or_b64 exec, exec, s[0:1]
	v_or_b32_e32 v17, 0x100, v0
	v_cmp_gt_u32_e32 vcc, s38, v17
	s_and_saveexec_b64 s[0:1], vcc
	s_cbranch_execz .LBB13_100
; %bb.99:
	v_lshlrev_b32_e32 v2, 2, v0
	global_load_dword v2, v2, s[34:35] offset:1024
.LBB13_100:
	s_or_b64 exec, exec, s[0:1]
	v_or_b32_e32 v17, 0x200, v0
	v_cmp_gt_u32_e64 s[0:1], s38, v17
	s_and_saveexec_b64 s[2:3], s[0:1]
	s_cbranch_execz .LBB13_102
; %bb.101:
	v_lshlrev_b32_e32 v3, 2, v0
	global_load_dword v3, v3, s[34:35] offset:2048
.LBB13_102:
	s_or_b64 exec, exec, s[2:3]
	v_or_b32_e32 v17, 0x300, v0
	v_cmp_gt_u32_e64 s[2:3], s38, v17
	s_and_saveexec_b64 s[8:9], s[2:3]
	;; [unrolled: 9-line block ×3, first 2 shown]
	s_cbranch_execz .LBB13_106
; %bb.105:
	v_lshlrev_b32_e32 v5, 2, v17
	global_load_dword v5, v5, s[34:35]
.LBB13_106:
	s_or_b64 exec, exec, s[10:11]
	v_or_b32_e32 v17, 0x500, v0
	v_cmp_gt_u32_e64 s[10:11], s38, v17
	s_and_saveexec_b64 s[12:13], s[10:11]
	s_cbranch_execz .LBB13_108
; %bb.107:
	v_lshlrev_b32_e32 v6, 2, v17
	global_load_dword v6, v6, s[34:35]
.LBB13_108:
	s_or_b64 exec, exec, s[12:13]
	v_or_b32_e32 v17, 0x600, v0
	v_cmp_gt_u32_e64 s[12:13], s38, v17
	s_and_saveexec_b64 s[14:15], s[12:13]
	;; [unrolled: 9-line block ×11, first 2 shown]
	s_cbranch_execz .LBB13_128
; %bb.127:
	v_lshlrev_b32_e32 v16, 2, v17
	global_load_dword v16, v16, s[34:35]
.LBB13_128:
	s_or_b64 exec, exec, s[36:37]
	s_waitcnt vmcnt(0)
	v_add_f32_e32 v2, v1, v2
	v_cndmask_b32_e32 v1, v1, v2, vcc
	v_add_f32_e32 v2, v3, v1
	v_cndmask_b32_e64 v1, v1, v2, s[0:1]
	v_add_f32_e32 v2, v4, v1
	v_cndmask_b32_e64 v1, v1, v2, s[2:3]
	;; [unrolled: 2-line block ×14, first 2 shown]
	v_mbcnt_lo_u32_b32 v2, -1, 0
	v_mbcnt_hi_u32_b32 v2, -1, v2
	v_and_b32_e32 v4, 63, v2
	v_cmp_ne_u32_e32 vcc, 63, v4
	v_addc_co_u32_e32 v3, vcc, 0, v2, vcc
	v_lshlrev_b32_e32 v3, 2, v3
	ds_bpermute_b32 v3, v3, v1
	s_min_u32 s8, s38, 0x100
	v_and_b32_e32 v5, 0xc0, v0
	v_sub_u32_e64 v5, s8, v5 clamp
	v_add_u32_e32 v6, 1, v4
	v_cmp_gt_u32_e64 s[0:1], 62, v4
	s_waitcnt lgkmcnt(0)
	v_add_f32_e32 v3, v1, v3
	v_cmp_lt_u32_e32 vcc, v6, v5
	v_cndmask_b32_e64 v6, 0, 2, s[0:1]
	v_cndmask_b32_e32 v3, v1, v3, vcc
	v_add_lshl_u32 v6, v6, v2, 2
	ds_bpermute_b32 v6, v6, v3
	v_add_u32_e32 v7, 2, v4
	v_cmp_lt_u32_e64 s[0:1], v7, v5
	v_add_u32_e32 v7, 4, v4
	s_waitcnt lgkmcnt(0)
	v_add_f32_e32 v6, v3, v6
	v_cndmask_b32_e64 v3, v3, v6, s[0:1]
	v_cmp_gt_u32_e64 s[0:1], 60, v4
	v_cndmask_b32_e64 v6, 0, 4, s[0:1]
	v_add_lshl_u32 v6, v6, v2, 2
	ds_bpermute_b32 v6, v6, v3
	v_cmp_lt_u32_e64 s[0:1], v7, v5
	v_add_u32_e32 v7, 8, v4
	s_waitcnt lgkmcnt(0)
	v_add_f32_e32 v6, v3, v6
	v_cndmask_b32_e64 v3, v3, v6, s[0:1]
	v_cmp_gt_u32_e64 s[0:1], 56, v4
	v_cndmask_b32_e64 v6, 0, 8, s[0:1]
	v_add_lshl_u32 v6, v6, v2, 2
	ds_bpermute_b32 v6, v6, v3
	v_cmp_lt_u32_e64 s[0:1], v7, v5
	v_add_u32_e32 v7, 16, v4
	s_waitcnt lgkmcnt(0)
	v_add_f32_e32 v6, v3, v6
	v_cndmask_b32_e64 v3, v3, v6, s[0:1]
	v_cmp_gt_u32_e64 s[0:1], 48, v4
	v_cndmask_b32_e64 v6, 0, 16, s[0:1]
	v_add_lshl_u32 v6, v6, v2, 2
	ds_bpermute_b32 v6, v6, v3
	v_cmp_lt_u32_e64 s[0:1], v7, v5
	v_add_u32_e32 v4, 32, v4
	s_waitcnt lgkmcnt(0)
	v_add_f32_e32 v6, v3, v6
	v_cndmask_b32_e64 v6, v3, v6, s[0:1]
	v_lshlrev_b32_e32 v3, 2, v2
	v_or_b32_e32 v7, 0x80, v3
	ds_bpermute_b32 v7, v7, v6
	v_cmp_lt_u32_e64 s[0:1], v4, v5
	s_waitcnt lgkmcnt(0)
	v_add_f32_e32 v7, v6, v7
	v_cndmask_b32_e64 v4, v6, v7, s[0:1]
	v_cndmask_b32_e32 v1, v1, v4, vcc
	v_cmp_eq_u32_e32 vcc, 0, v2
	s_and_saveexec_b64 s[0:1], vcc
; %bb.129:
	v_lshrrev_b32_e32 v4, 4, v0
	v_and_b32_e32 v4, 12, v4
	ds_write_b32 v4, v1 offset:96
; %bb.130:
	s_or_b64 exec, exec, s[0:1]
	v_cmp_gt_u32_e32 vcc, 4, v0
	s_waitcnt lgkmcnt(0)
	s_barrier
	s_and_saveexec_b64 s[2:3], vcc
	s_cbranch_execz .LBB13_132
; %bb.131:
	ds_read_b32 v1, v3 offset:96
	v_and_b32_e32 v4, 3, v2
	v_cmp_ne_u32_e32 vcc, 3, v4
	v_addc_co_u32_e32 v2, vcc, 0, v2, vcc
	v_lshlrev_b32_e32 v2, 2, v2
	s_waitcnt lgkmcnt(0)
	ds_bpermute_b32 v2, v2, v1
	s_add_i32 s8, s8, 63
	s_lshr_b32 s0, s8, 6
	v_add_u32_e32 v5, 1, v4
	v_cmp_gt_u32_e32 vcc, s0, v5
	s_waitcnt lgkmcnt(0)
	v_add_f32_e32 v2, v1, v2
	v_cndmask_b32_e32 v2, v1, v2, vcc
	v_or_b32_e32 v3, 8, v3
	ds_bpermute_b32 v3, v3, v2
	v_add_u32_e32 v4, 2, v4
	v_cmp_gt_u32_e64 s[0:1], s0, v4
	s_waitcnt lgkmcnt(0)
	v_add_f32_e32 v3, v2, v3
	v_cndmask_b32_e64 v2, v2, v3, s[0:1]
	v_cndmask_b32_e32 v1, v1, v2, vcc
.LBB13_132:
	s_or_b64 exec, exec, s[2:3]
.LBB13_133:
	v_cmp_eq_u32_e64 s[0:1], 0, v0
	s_branch .LBB13_142
.LBB13_134:
	s_cmp_eq_u32 s33, 8
	s_cbranch_scc0 .LBB13_141
; %bb.135:
	s_mov_b32 s7, 0
	s_lshl_b32 s0, s6, 11
	s_mov_b32 s1, s7
	s_lshr_b64 s[2:3], s[70:71], 11
	s_lshl_b64 s[8:9], s[0:1], 2
	s_add_u32 s16, s68, s8
	s_addc_u32 s17, s69, s9
	s_cmp_lg_u64 s[2:3], s[6:7]
	s_cbranch_scc0 .LBB13_143
; %bb.136:
	v_lshlrev_b32_e32 v3, 2, v0
	v_mov_b32_e32 v1, s17
	v_add_co_u32_e32 v2, vcc, s16, v3
	v_addc_co_u32_e32 v4, vcc, 0, v1, vcc
	v_add_co_u32_e32 v1, vcc, 0x1000, v2
	v_addc_co_u32_e32 v2, vcc, 0, v4, vcc
	global_load_dword v4, v3, s[16:17]
	global_load_dword v5, v3, s[16:17] offset:1024
	global_load_dword v6, v3, s[16:17] offset:2048
	;; [unrolled: 1-line block ×3, first 2 shown]
	global_load_dword v8, v[1:2], off
	global_load_dword v9, v[1:2], off offset:1024
	global_load_dword v10, v[1:2], off offset:2048
	;; [unrolled: 1-line block ×3, first 2 shown]
	v_mbcnt_lo_u32_b32 v1, -1, 0
	v_mbcnt_hi_u32_b32 v2, -1, v1
	v_lshlrev_b32_e32 v3, 2, v2
	v_cmp_eq_u32_e32 vcc, 0, v2
	s_waitcnt vmcnt(6)
	v_add_f32_e32 v1, v4, v5
	s_waitcnt vmcnt(5)
	v_add_f32_e32 v1, v1, v6
	s_waitcnt vmcnt(4)
	v_add_f32_e32 v1, v1, v7
	s_waitcnt vmcnt(3)
	v_add_f32_e32 v1, v1, v8
	s_waitcnt vmcnt(2)
	v_add_f32_e32 v1, v1, v9
	s_waitcnt vmcnt(1)
	v_add_f32_e32 v1, v1, v10
	s_waitcnt vmcnt(0)
	v_add_f32_e32 v1, v1, v11
	v_or_b32_e32 v4, 0xfc, v3
	s_nop 0
	v_add_f32_dpp v1, v1, v1 quad_perm:[1,0,3,2] row_mask:0xf bank_mask:0xf bound_ctrl:1
	s_nop 1
	v_add_f32_dpp v1, v1, v1 quad_perm:[2,3,0,1] row_mask:0xf bank_mask:0xf bound_ctrl:1
	s_nop 1
	v_add_f32_dpp v1, v1, v1 row_ror:4 row_mask:0xf bank_mask:0xf bound_ctrl:1
	s_nop 1
	v_add_f32_dpp v1, v1, v1 row_ror:8 row_mask:0xf bank_mask:0xf bound_ctrl:1
	s_nop 1
	v_add_f32_dpp v1, v1, v1 row_bcast:15 row_mask:0xf bank_mask:0xf bound_ctrl:1
	s_nop 1
	v_add_f32_dpp v1, v1, v1 row_bcast:31 row_mask:0xf bank_mask:0xf bound_ctrl:1
	ds_bpermute_b32 v1, v4, v1
	s_and_saveexec_b64 s[2:3], vcc
	s_cbranch_execz .LBB13_138
; %bb.137:
	v_lshrrev_b32_e32 v4, 4, v0
	v_and_b32_e32 v4, 12, v4
	s_waitcnt lgkmcnt(0)
	ds_write_b32 v4, v1 offset:80
.LBB13_138:
	s_or_b64 exec, exec, s[2:3]
	v_cmp_gt_u32_e32 vcc, 64, v0
	s_waitcnt lgkmcnt(0)
	s_barrier
	s_and_saveexec_b64 s[2:3], vcc
	s_cbranch_execz .LBB13_140
; %bb.139:
	v_and_b32_e32 v1, 3, v2
	v_lshlrev_b32_e32 v4, 2, v1
	ds_read_b32 v4, v4 offset:80
	v_cmp_ne_u32_e32 vcc, 3, v1
	v_addc_co_u32_e32 v1, vcc, 0, v2, vcc
	v_lshlrev_b32_e32 v1, 2, v1
	s_waitcnt lgkmcnt(0)
	ds_bpermute_b32 v1, v1, v4
	v_or_b32_e32 v2, 8, v3
	s_waitcnt lgkmcnt(0)
	v_add_f32_e32 v1, v4, v1
	ds_bpermute_b32 v2, v2, v1
	s_waitcnt lgkmcnt(0)
	v_add_f32_e32 v1, v1, v2
.LBB13_140:
	s_or_b64 exec, exec, s[2:3]
	s_branch .LBB13_165
.LBB13_141:
                                        ; implicit-def: $vgpr1
.LBB13_142:
	s_branch .LBB13_224
.LBB13_143:
                                        ; implicit-def: $vgpr1
	s_cbranch_execz .LBB13_165
; %bb.144:
	s_sub_i32 s20, s70, s0
	v_mov_b32_e32 v1, 0
	v_cmp_gt_u32_e32 vcc, s20, v0
	v_mov_b32_e32 v2, v1
	v_mov_b32_e32 v3, v1
	;; [unrolled: 1-line block ×7, first 2 shown]
	s_and_saveexec_b64 s[0:1], vcc
	s_cbranch_execz .LBB13_146
; %bb.145:
	v_lshlrev_b32_e32 v2, 2, v0
	global_load_dword v2, v2, s[16:17]
	v_mov_b32_e32 v3, v1
	v_mov_b32_e32 v4, v1
	;; [unrolled: 1-line block ×7, first 2 shown]
	s_waitcnt vmcnt(0)
	v_mov_b32_e32 v1, v2
	v_mov_b32_e32 v2, v3
	;; [unrolled: 1-line block ×8, first 2 shown]
.LBB13_146:
	s_or_b64 exec, exec, s[0:1]
	v_or_b32_e32 v9, 0x100, v0
	v_cmp_gt_u32_e32 vcc, s20, v9
	s_and_saveexec_b64 s[0:1], vcc
	s_cbranch_execz .LBB13_148
; %bb.147:
	v_lshlrev_b32_e32 v2, 2, v0
	global_load_dword v2, v2, s[16:17] offset:1024
.LBB13_148:
	s_or_b64 exec, exec, s[0:1]
	v_or_b32_e32 v9, 0x200, v0
	v_cmp_gt_u32_e64 s[0:1], s20, v9
	s_and_saveexec_b64 s[2:3], s[0:1]
	s_cbranch_execz .LBB13_150
; %bb.149:
	v_lshlrev_b32_e32 v3, 2, v0
	global_load_dword v3, v3, s[16:17] offset:2048
.LBB13_150:
	s_or_b64 exec, exec, s[2:3]
	v_or_b32_e32 v9, 0x300, v0
	v_cmp_gt_u32_e64 s[2:3], s20, v9
	s_and_saveexec_b64 s[8:9], s[2:3]
	;; [unrolled: 9-line block ×3, first 2 shown]
	s_cbranch_execz .LBB13_154
; %bb.153:
	v_lshlrev_b32_e32 v5, 2, v9
	global_load_dword v5, v5, s[16:17]
.LBB13_154:
	s_or_b64 exec, exec, s[10:11]
	v_or_b32_e32 v9, 0x500, v0
	v_cmp_gt_u32_e64 s[10:11], s20, v9
	s_and_saveexec_b64 s[12:13], s[10:11]
	s_cbranch_execz .LBB13_156
; %bb.155:
	v_lshlrev_b32_e32 v6, 2, v9
	global_load_dword v6, v6, s[16:17]
.LBB13_156:
	s_or_b64 exec, exec, s[12:13]
	v_or_b32_e32 v9, 0x600, v0
	v_cmp_gt_u32_e64 s[12:13], s20, v9
	s_and_saveexec_b64 s[14:15], s[12:13]
	s_cbranch_execz .LBB13_158
; %bb.157:
	v_lshlrev_b32_e32 v7, 2, v9
	global_load_dword v7, v7, s[16:17]
.LBB13_158:
	s_or_b64 exec, exec, s[14:15]
	v_or_b32_e32 v9, 0x700, v0
	v_cmp_gt_u32_e64 s[14:15], s20, v9
	s_and_saveexec_b64 s[18:19], s[14:15]
	s_cbranch_execz .LBB13_160
; %bb.159:
	v_lshlrev_b32_e32 v8, 2, v9
	global_load_dword v8, v8, s[16:17]
.LBB13_160:
	s_or_b64 exec, exec, s[18:19]
	s_waitcnt vmcnt(0)
	v_add_f32_e32 v2, v1, v2
	v_cndmask_b32_e32 v1, v1, v2, vcc
	v_add_f32_e32 v2, v3, v1
	v_cndmask_b32_e64 v1, v1, v2, s[0:1]
	v_add_f32_e32 v2, v4, v1
	v_cndmask_b32_e64 v1, v1, v2, s[2:3]
	;; [unrolled: 2-line block ×6, first 2 shown]
	v_mbcnt_lo_u32_b32 v2, -1, 0
	v_mbcnt_hi_u32_b32 v2, -1, v2
	v_and_b32_e32 v4, 63, v2
	v_cmp_ne_u32_e32 vcc, 63, v4
	v_addc_co_u32_e32 v3, vcc, 0, v2, vcc
	v_lshlrev_b32_e32 v3, 2, v3
	ds_bpermute_b32 v3, v3, v1
	s_min_u32 s8, s20, 0x100
	v_and_b32_e32 v5, 0xc0, v0
	v_sub_u32_e64 v5, s8, v5 clamp
	v_add_u32_e32 v6, 1, v4
	v_cmp_gt_u32_e64 s[0:1], 62, v4
	s_waitcnt lgkmcnt(0)
	v_add_f32_e32 v3, v1, v3
	v_cmp_lt_u32_e32 vcc, v6, v5
	v_cndmask_b32_e64 v6, 0, 2, s[0:1]
	v_cndmask_b32_e32 v3, v1, v3, vcc
	v_add_lshl_u32 v6, v6, v2, 2
	ds_bpermute_b32 v6, v6, v3
	v_add_u32_e32 v7, 2, v4
	v_cmp_lt_u32_e64 s[0:1], v7, v5
	v_add_u32_e32 v7, 4, v4
	s_waitcnt lgkmcnt(0)
	v_add_f32_e32 v6, v3, v6
	v_cndmask_b32_e64 v3, v3, v6, s[0:1]
	v_cmp_gt_u32_e64 s[0:1], 60, v4
	v_cndmask_b32_e64 v6, 0, 4, s[0:1]
	v_add_lshl_u32 v6, v6, v2, 2
	ds_bpermute_b32 v6, v6, v3
	v_cmp_lt_u32_e64 s[0:1], v7, v5
	v_add_u32_e32 v7, 8, v4
	s_waitcnt lgkmcnt(0)
	v_add_f32_e32 v6, v3, v6
	v_cndmask_b32_e64 v3, v3, v6, s[0:1]
	v_cmp_gt_u32_e64 s[0:1], 56, v4
	v_cndmask_b32_e64 v6, 0, 8, s[0:1]
	v_add_lshl_u32 v6, v6, v2, 2
	ds_bpermute_b32 v6, v6, v3
	;; [unrolled: 9-line block ×3, first 2 shown]
	v_cmp_lt_u32_e64 s[0:1], v7, v5
	v_add_u32_e32 v4, 32, v4
	s_waitcnt lgkmcnt(0)
	v_add_f32_e32 v6, v3, v6
	v_cndmask_b32_e64 v6, v3, v6, s[0:1]
	v_lshlrev_b32_e32 v3, 2, v2
	v_or_b32_e32 v7, 0x80, v3
	ds_bpermute_b32 v7, v7, v6
	v_cmp_lt_u32_e64 s[0:1], v4, v5
	s_waitcnt lgkmcnt(0)
	v_add_f32_e32 v7, v6, v7
	v_cndmask_b32_e64 v4, v6, v7, s[0:1]
	v_cndmask_b32_e32 v1, v1, v4, vcc
	v_cmp_eq_u32_e32 vcc, 0, v2
	s_and_saveexec_b64 s[0:1], vcc
; %bb.161:
	v_lshrrev_b32_e32 v4, 4, v0
	v_and_b32_e32 v4, 12, v4
	ds_write_b32 v4, v1 offset:96
; %bb.162:
	s_or_b64 exec, exec, s[0:1]
	v_cmp_gt_u32_e32 vcc, 4, v0
	s_waitcnt lgkmcnt(0)
	s_barrier
	s_and_saveexec_b64 s[2:3], vcc
	s_cbranch_execz .LBB13_164
; %bb.163:
	ds_read_b32 v1, v3 offset:96
	v_and_b32_e32 v4, 3, v2
	v_cmp_ne_u32_e32 vcc, 3, v4
	v_addc_co_u32_e32 v2, vcc, 0, v2, vcc
	v_lshlrev_b32_e32 v2, 2, v2
	s_waitcnt lgkmcnt(0)
	ds_bpermute_b32 v2, v2, v1
	s_add_i32 s8, s8, 63
	s_lshr_b32 s0, s8, 6
	v_add_u32_e32 v5, 1, v4
	v_cmp_gt_u32_e32 vcc, s0, v5
	s_waitcnt lgkmcnt(0)
	v_add_f32_e32 v2, v1, v2
	v_cndmask_b32_e32 v2, v1, v2, vcc
	v_or_b32_e32 v3, 8, v3
	ds_bpermute_b32 v3, v3, v2
	v_add_u32_e32 v4, 2, v4
	v_cmp_gt_u32_e64 s[0:1], s0, v4
	s_waitcnt lgkmcnt(0)
	v_add_f32_e32 v3, v2, v3
	v_cndmask_b32_e64 v2, v2, v3, s[0:1]
	v_cndmask_b32_e32 v1, v1, v2, vcc
.LBB13_164:
	s_or_b64 exec, exec, s[2:3]
.LBB13_165:
	v_cmp_eq_u32_e64 s[0:1], 0, v0
	s_branch .LBB13_224
.LBB13_166:
	s_cmp_gt_i32 s33, 1
	s_cbranch_scc0 .LBB13_175
; %bb.167:
	s_cmp_gt_i32 s33, 3
	s_cbranch_scc0 .LBB13_176
; %bb.168:
	s_cmp_eq_u32 s33, 4
	s_cbranch_scc0 .LBB13_177
; %bb.169:
	s_mov_b32 s7, 0
	s_lshl_b32 s0, s6, 10
	s_mov_b32 s1, s7
	s_lshr_b64 s[2:3], s[70:71], 10
	s_lshl_b64 s[8:9], s[0:1], 2
	s_add_u32 s8, s68, s8
	s_addc_u32 s9, s69, s9
	s_cmp_lg_u64 s[2:3], s[6:7]
	s_cbranch_scc0 .LBB13_179
; %bb.170:
	v_lshlrev_b32_e32 v1, 2, v0
	global_load_dword v4, v1, s[8:9]
	global_load_dword v5, v1, s[8:9] offset:1024
	global_load_dword v6, v1, s[8:9] offset:2048
	;; [unrolled: 1-line block ×3, first 2 shown]
	v_mbcnt_lo_u32_b32 v1, -1, 0
	v_mbcnt_hi_u32_b32 v2, -1, v1
	v_lshlrev_b32_e32 v3, 2, v2
	v_cmp_eq_u32_e32 vcc, 0, v2
	s_waitcnt vmcnt(2)
	v_add_f32_e32 v1, v4, v5
	s_waitcnt vmcnt(1)
	v_add_f32_e32 v1, v1, v6
	;; [unrolled: 2-line block ×3, first 2 shown]
	v_or_b32_e32 v4, 0xfc, v3
	s_nop 0
	v_add_f32_dpp v1, v1, v1 quad_perm:[1,0,3,2] row_mask:0xf bank_mask:0xf bound_ctrl:1
	s_nop 1
	v_add_f32_dpp v1, v1, v1 quad_perm:[2,3,0,1] row_mask:0xf bank_mask:0xf bound_ctrl:1
	s_nop 1
	v_add_f32_dpp v1, v1, v1 row_ror:4 row_mask:0xf bank_mask:0xf bound_ctrl:1
	s_nop 1
	v_add_f32_dpp v1, v1, v1 row_ror:8 row_mask:0xf bank_mask:0xf bound_ctrl:1
	s_nop 1
	v_add_f32_dpp v1, v1, v1 row_bcast:15 row_mask:0xf bank_mask:0xf bound_ctrl:1
	s_nop 1
	v_add_f32_dpp v1, v1, v1 row_bcast:31 row_mask:0xf bank_mask:0xf bound_ctrl:1
	ds_bpermute_b32 v1, v4, v1
	s_and_saveexec_b64 s[2:3], vcc
	s_cbranch_execz .LBB13_172
; %bb.171:
	v_lshrrev_b32_e32 v4, 4, v0
	v_and_b32_e32 v4, 12, v4
	s_waitcnt lgkmcnt(0)
	ds_write_b32 v4, v1 offset:64
.LBB13_172:
	s_or_b64 exec, exec, s[2:3]
	v_cmp_gt_u32_e32 vcc, 64, v0
	s_waitcnt lgkmcnt(0)
	s_barrier
	s_and_saveexec_b64 s[2:3], vcc
	s_cbranch_execz .LBB13_174
; %bb.173:
	v_and_b32_e32 v1, 3, v2
	v_lshlrev_b32_e32 v4, 2, v1
	ds_read_b32 v4, v4 offset:64
	v_cmp_ne_u32_e32 vcc, 3, v1
	v_addc_co_u32_e32 v1, vcc, 0, v2, vcc
	v_lshlrev_b32_e32 v1, 2, v1
	s_waitcnt lgkmcnt(0)
	ds_bpermute_b32 v1, v1, v4
	v_or_b32_e32 v2, 8, v3
	s_waitcnt lgkmcnt(0)
	v_add_f32_e32 v1, v4, v1
	ds_bpermute_b32 v2, v2, v1
	s_waitcnt lgkmcnt(0)
	v_add_f32_e32 v1, v1, v2
.LBB13_174:
	s_or_b64 exec, exec, s[2:3]
	s_mov_b64 s[2:3], 0
	s_branch .LBB13_180
.LBB13_175:
                                        ; implicit-def: $vgpr1
	s_cbranch_execnz .LBB13_215
	s_branch .LBB13_224
.LBB13_176:
                                        ; implicit-def: $vgpr1
	s_cbranch_execz .LBB13_178
	s_branch .LBB13_195
.LBB13_177:
                                        ; implicit-def: $vgpr1
.LBB13_178:
	s_branch .LBB13_224
.LBB13_179:
	s_mov_b64 s[2:3], -1
                                        ; implicit-def: $vgpr1
.LBB13_180:
	s_and_b64 vcc, exec, s[2:3]
	s_cbranch_vccz .LBB13_194
; %bb.181:
	s_sub_i32 s12, s70, s0
	v_mov_b32_e32 v1, 0
	v_cmp_gt_u32_e32 vcc, s12, v0
	v_mov_b32_e32 v2, v1
	v_mov_b32_e32 v3, v1
	;; [unrolled: 1-line block ×3, first 2 shown]
	s_and_saveexec_b64 s[0:1], vcc
	s_cbranch_execz .LBB13_183
; %bb.182:
	v_lshlrev_b32_e32 v2, 2, v0
	global_load_dword v2, v2, s[8:9]
	v_mov_b32_e32 v3, v1
	v_mov_b32_e32 v4, v1
	;; [unrolled: 1-line block ×3, first 2 shown]
	s_waitcnt vmcnt(0)
	v_mov_b32_e32 v1, v2
	v_mov_b32_e32 v2, v3
	;; [unrolled: 1-line block ×4, first 2 shown]
.LBB13_183:
	s_or_b64 exec, exec, s[0:1]
	v_or_b32_e32 v5, 0x100, v0
	v_cmp_gt_u32_e32 vcc, s12, v5
	s_and_saveexec_b64 s[0:1], vcc
	s_cbranch_execz .LBB13_185
; %bb.184:
	v_lshlrev_b32_e32 v2, 2, v0
	global_load_dword v2, v2, s[8:9] offset:1024
.LBB13_185:
	s_or_b64 exec, exec, s[0:1]
	v_or_b32_e32 v5, 0x200, v0
	v_cmp_gt_u32_e64 s[0:1], s12, v5
	s_and_saveexec_b64 s[2:3], s[0:1]
	s_cbranch_execz .LBB13_187
; %bb.186:
	v_lshlrev_b32_e32 v3, 2, v0
	global_load_dword v3, v3, s[8:9] offset:2048
.LBB13_187:
	s_or_b64 exec, exec, s[2:3]
	v_or_b32_e32 v5, 0x300, v0
	v_cmp_gt_u32_e64 s[2:3], s12, v5
	s_and_saveexec_b64 s[10:11], s[2:3]
	s_cbranch_execz .LBB13_189
; %bb.188:
	v_lshlrev_b32_e32 v4, 2, v0
	global_load_dword v4, v4, s[8:9] offset:3072
.LBB13_189:
	s_or_b64 exec, exec, s[10:11]
	s_waitcnt vmcnt(0)
	v_add_f32_e32 v2, v1, v2
	v_cndmask_b32_e32 v1, v1, v2, vcc
	v_add_f32_e32 v2, v3, v1
	v_cndmask_b32_e64 v1, v1, v2, s[0:1]
	v_add_f32_e32 v2, v4, v1
	v_cndmask_b32_e64 v1, v1, v2, s[2:3]
	v_mbcnt_lo_u32_b32 v2, -1, 0
	v_mbcnt_hi_u32_b32 v2, -1, v2
	v_and_b32_e32 v4, 63, v2
	v_cmp_ne_u32_e32 vcc, 63, v4
	v_addc_co_u32_e32 v3, vcc, 0, v2, vcc
	v_lshlrev_b32_e32 v3, 2, v3
	ds_bpermute_b32 v3, v3, v1
	s_min_u32 s8, s12, 0x100
	v_and_b32_e32 v5, 0xc0, v0
	v_sub_u32_e64 v5, s8, v5 clamp
	v_add_u32_e32 v6, 1, v4
	v_cmp_gt_u32_e64 s[0:1], 62, v4
	s_waitcnt lgkmcnt(0)
	v_add_f32_e32 v3, v1, v3
	v_cmp_lt_u32_e32 vcc, v6, v5
	v_cndmask_b32_e64 v6, 0, 2, s[0:1]
	v_cndmask_b32_e32 v3, v1, v3, vcc
	v_add_lshl_u32 v6, v6, v2, 2
	ds_bpermute_b32 v6, v6, v3
	v_add_u32_e32 v7, 2, v4
	v_cmp_lt_u32_e64 s[0:1], v7, v5
	v_add_u32_e32 v7, 4, v4
	s_waitcnt lgkmcnt(0)
	v_add_f32_e32 v6, v3, v6
	v_cndmask_b32_e64 v3, v3, v6, s[0:1]
	v_cmp_gt_u32_e64 s[0:1], 60, v4
	v_cndmask_b32_e64 v6, 0, 4, s[0:1]
	v_add_lshl_u32 v6, v6, v2, 2
	ds_bpermute_b32 v6, v6, v3
	v_cmp_lt_u32_e64 s[0:1], v7, v5
	v_add_u32_e32 v7, 8, v4
	s_waitcnt lgkmcnt(0)
	v_add_f32_e32 v6, v3, v6
	v_cndmask_b32_e64 v3, v3, v6, s[0:1]
	v_cmp_gt_u32_e64 s[0:1], 56, v4
	v_cndmask_b32_e64 v6, 0, 8, s[0:1]
	v_add_lshl_u32 v6, v6, v2, 2
	ds_bpermute_b32 v6, v6, v3
	;; [unrolled: 9-line block ×3, first 2 shown]
	v_cmp_lt_u32_e64 s[0:1], v7, v5
	v_add_u32_e32 v4, 32, v4
	s_waitcnt lgkmcnt(0)
	v_add_f32_e32 v6, v3, v6
	v_cndmask_b32_e64 v6, v3, v6, s[0:1]
	v_lshlrev_b32_e32 v3, 2, v2
	v_or_b32_e32 v7, 0x80, v3
	ds_bpermute_b32 v7, v7, v6
	v_cmp_lt_u32_e64 s[0:1], v4, v5
	s_waitcnt lgkmcnt(0)
	v_add_f32_e32 v7, v6, v7
	v_cndmask_b32_e64 v4, v6, v7, s[0:1]
	v_cndmask_b32_e32 v1, v1, v4, vcc
	v_cmp_eq_u32_e32 vcc, 0, v2
	s_and_saveexec_b64 s[0:1], vcc
; %bb.190:
	v_lshrrev_b32_e32 v4, 4, v0
	v_and_b32_e32 v4, 12, v4
	ds_write_b32 v4, v1 offset:96
; %bb.191:
	s_or_b64 exec, exec, s[0:1]
	v_cmp_gt_u32_e32 vcc, 4, v0
	s_waitcnt lgkmcnt(0)
	s_barrier
	s_and_saveexec_b64 s[2:3], vcc
	s_cbranch_execz .LBB13_193
; %bb.192:
	ds_read_b32 v1, v3 offset:96
	v_and_b32_e32 v4, 3, v2
	v_cmp_ne_u32_e32 vcc, 3, v4
	v_addc_co_u32_e32 v2, vcc, 0, v2, vcc
	v_lshlrev_b32_e32 v2, 2, v2
	s_waitcnt lgkmcnt(0)
	ds_bpermute_b32 v2, v2, v1
	s_add_i32 s8, s8, 63
	s_lshr_b32 s0, s8, 6
	v_add_u32_e32 v5, 1, v4
	v_cmp_gt_u32_e32 vcc, s0, v5
	s_waitcnt lgkmcnt(0)
	v_add_f32_e32 v2, v1, v2
	v_cndmask_b32_e32 v2, v1, v2, vcc
	v_or_b32_e32 v3, 8, v3
	ds_bpermute_b32 v3, v3, v2
	v_add_u32_e32 v4, 2, v4
	v_cmp_gt_u32_e64 s[0:1], s0, v4
	s_waitcnt lgkmcnt(0)
	v_add_f32_e32 v3, v2, v3
	v_cndmask_b32_e64 v2, v2, v3, s[0:1]
	v_cndmask_b32_e32 v1, v1, v2, vcc
.LBB13_193:
	s_or_b64 exec, exec, s[2:3]
.LBB13_194:
	v_cmp_eq_u32_e64 s[0:1], 0, v0
	s_branch .LBB13_178
.LBB13_195:
	s_cmp_eq_u32 s33, 2
	s_cbranch_scc0 .LBB13_202
; %bb.196:
	s_mov_b32 s7, 0
	s_lshl_b32 s2, s6, 9
	s_mov_b32 s3, s7
	s_lshr_b64 s[8:9], s[70:71], 9
	s_lshl_b64 s[0:1], s[2:3], 2
	s_add_u32 s0, s68, s0
	s_addc_u32 s1, s69, s1
	s_cmp_lg_u64 s[8:9], s[6:7]
	s_cbranch_scc0 .LBB13_203
; %bb.197:
	v_lshlrev_b32_e32 v1, 2, v0
	global_load_dword v4, v1, s[0:1]
	global_load_dword v5, v1, s[0:1] offset:1024
	v_mbcnt_lo_u32_b32 v1, -1, 0
	v_mbcnt_hi_u32_b32 v2, -1, v1
	v_lshlrev_b32_e32 v3, 2, v2
	v_cmp_eq_u32_e32 vcc, 0, v2
	s_waitcnt vmcnt(0)
	v_add_f32_e32 v1, v4, v5
	s_nop 1
	v_add_f32_dpp v1, v1, v1 quad_perm:[1,0,3,2] row_mask:0xf bank_mask:0xf bound_ctrl:1
	v_or_b32_e32 v4, 0xfc, v3
	s_nop 0
	v_add_f32_dpp v1, v1, v1 quad_perm:[2,3,0,1] row_mask:0xf bank_mask:0xf bound_ctrl:1
	s_nop 1
	v_add_f32_dpp v1, v1, v1 row_ror:4 row_mask:0xf bank_mask:0xf bound_ctrl:1
	s_nop 1
	v_add_f32_dpp v1, v1, v1 row_ror:8 row_mask:0xf bank_mask:0xf bound_ctrl:1
	s_nop 1
	v_add_f32_dpp v1, v1, v1 row_bcast:15 row_mask:0xf bank_mask:0xf bound_ctrl:1
	s_nop 1
	v_add_f32_dpp v1, v1, v1 row_bcast:31 row_mask:0xf bank_mask:0xf bound_ctrl:1
	ds_bpermute_b32 v1, v4, v1
	s_and_saveexec_b64 s[8:9], vcc
	s_cbranch_execz .LBB13_199
; %bb.198:
	v_lshrrev_b32_e32 v4, 4, v0
	v_and_b32_e32 v4, 12, v4
	s_waitcnt lgkmcnt(0)
	ds_write_b32 v4, v1 offset:32
.LBB13_199:
	s_or_b64 exec, exec, s[8:9]
	v_cmp_gt_u32_e32 vcc, 64, v0
	s_waitcnt lgkmcnt(0)
	s_barrier
	s_and_saveexec_b64 s[8:9], vcc
	s_cbranch_execz .LBB13_201
; %bb.200:
	v_and_b32_e32 v1, 3, v2
	v_lshlrev_b32_e32 v4, 2, v1
	ds_read_b32 v4, v4 offset:32
	v_cmp_ne_u32_e32 vcc, 3, v1
	v_addc_co_u32_e32 v1, vcc, 0, v2, vcc
	v_lshlrev_b32_e32 v1, 2, v1
	s_waitcnt lgkmcnt(0)
	ds_bpermute_b32 v1, v1, v4
	v_or_b32_e32 v2, 8, v3
	s_waitcnt lgkmcnt(0)
	v_add_f32_e32 v1, v4, v1
	ds_bpermute_b32 v2, v2, v1
	s_waitcnt lgkmcnt(0)
	v_add_f32_e32 v1, v1, v2
.LBB13_201:
	s_or_b64 exec, exec, s[8:9]
	s_mov_b64 s[8:9], 0
	s_branch .LBB13_204
.LBB13_202:
                                        ; implicit-def: $vgpr1
	s_branch .LBB13_224
.LBB13_203:
	s_mov_b64 s[8:9], -1
                                        ; implicit-def: $vgpr1
.LBB13_204:
	s_and_b64 vcc, exec, s[8:9]
	s_cbranch_vccz .LBB13_214
; %bb.205:
	s_sub_i32 s8, s70, s2
	v_mov_b32_e32 v1, 0
	v_cmp_gt_u32_e32 vcc, s8, v0
	v_mov_b32_e32 v2, v1
	s_and_saveexec_b64 s[2:3], vcc
	s_cbranch_execz .LBB13_207
; %bb.206:
	v_lshlrev_b32_e32 v2, 2, v0
	global_load_dword v2, v2, s[0:1]
	v_mov_b32_e32 v3, v1
	s_waitcnt vmcnt(0)
	v_mov_b32_e32 v1, v2
	v_mov_b32_e32 v2, v3
.LBB13_207:
	s_or_b64 exec, exec, s[2:3]
	v_or_b32_e32 v3, 0x100, v0
	v_cmp_gt_u32_e32 vcc, s8, v3
	s_and_saveexec_b64 s[2:3], vcc
	s_cbranch_execz .LBB13_209
; %bb.208:
	v_lshlrev_b32_e32 v2, 2, v0
	global_load_dword v2, v2, s[0:1] offset:1024
.LBB13_209:
	s_or_b64 exec, exec, s[2:3]
	s_waitcnt vmcnt(0)
	v_add_f32_e32 v2, v2, v1
	v_cndmask_b32_e32 v1, v1, v2, vcc
	v_mbcnt_lo_u32_b32 v2, -1, 0
	v_mbcnt_hi_u32_b32 v2, -1, v2
	v_and_b32_e32 v4, 63, v2
	v_cmp_ne_u32_e32 vcc, 63, v4
	v_addc_co_u32_e32 v3, vcc, 0, v2, vcc
	v_lshlrev_b32_e32 v3, 2, v3
	ds_bpermute_b32 v3, v3, v1
	s_min_u32 s8, s8, 0x100
	v_and_b32_e32 v5, 0xc0, v0
	v_sub_u32_e64 v5, s8, v5 clamp
	v_add_u32_e32 v6, 1, v4
	v_cmp_gt_u32_e64 s[0:1], 62, v4
	s_waitcnt lgkmcnt(0)
	v_add_f32_e32 v3, v1, v3
	v_cmp_lt_u32_e32 vcc, v6, v5
	v_cndmask_b32_e64 v6, 0, 2, s[0:1]
	v_cndmask_b32_e32 v3, v1, v3, vcc
	v_add_lshl_u32 v6, v6, v2, 2
	ds_bpermute_b32 v6, v6, v3
	v_add_u32_e32 v7, 2, v4
	v_cmp_lt_u32_e64 s[0:1], v7, v5
	v_add_u32_e32 v7, 4, v4
	s_waitcnt lgkmcnt(0)
	v_add_f32_e32 v6, v3, v6
	v_cndmask_b32_e64 v3, v3, v6, s[0:1]
	v_cmp_gt_u32_e64 s[0:1], 60, v4
	v_cndmask_b32_e64 v6, 0, 4, s[0:1]
	v_add_lshl_u32 v6, v6, v2, 2
	ds_bpermute_b32 v6, v6, v3
	v_cmp_lt_u32_e64 s[0:1], v7, v5
	v_add_u32_e32 v7, 8, v4
	s_waitcnt lgkmcnt(0)
	v_add_f32_e32 v6, v3, v6
	v_cndmask_b32_e64 v3, v3, v6, s[0:1]
	v_cmp_gt_u32_e64 s[0:1], 56, v4
	v_cndmask_b32_e64 v6, 0, 8, s[0:1]
	v_add_lshl_u32 v6, v6, v2, 2
	ds_bpermute_b32 v6, v6, v3
	;; [unrolled: 9-line block ×3, first 2 shown]
	v_cmp_lt_u32_e64 s[0:1], v7, v5
	v_add_u32_e32 v4, 32, v4
	s_waitcnt lgkmcnt(0)
	v_add_f32_e32 v6, v3, v6
	v_cndmask_b32_e64 v6, v3, v6, s[0:1]
	v_lshlrev_b32_e32 v3, 2, v2
	v_or_b32_e32 v7, 0x80, v3
	ds_bpermute_b32 v7, v7, v6
	v_cmp_lt_u32_e64 s[0:1], v4, v5
	s_waitcnt lgkmcnt(0)
	v_add_f32_e32 v7, v6, v7
	v_cndmask_b32_e64 v4, v6, v7, s[0:1]
	v_cndmask_b32_e32 v1, v1, v4, vcc
	v_cmp_eq_u32_e32 vcc, 0, v2
	s_and_saveexec_b64 s[0:1], vcc
; %bb.210:
	v_lshrrev_b32_e32 v4, 4, v0
	v_and_b32_e32 v4, 12, v4
	ds_write_b32 v4, v1 offset:96
; %bb.211:
	s_or_b64 exec, exec, s[0:1]
	v_cmp_gt_u32_e32 vcc, 4, v0
	s_waitcnt lgkmcnt(0)
	s_barrier
	s_and_saveexec_b64 s[2:3], vcc
	s_cbranch_execz .LBB13_213
; %bb.212:
	ds_read_b32 v1, v3 offset:96
	v_and_b32_e32 v4, 3, v2
	v_cmp_ne_u32_e32 vcc, 3, v4
	v_addc_co_u32_e32 v2, vcc, 0, v2, vcc
	v_lshlrev_b32_e32 v2, 2, v2
	s_waitcnt lgkmcnt(0)
	ds_bpermute_b32 v2, v2, v1
	s_add_i32 s8, s8, 63
	s_lshr_b32 s0, s8, 6
	v_add_u32_e32 v5, 1, v4
	v_cmp_gt_u32_e32 vcc, s0, v5
	s_waitcnt lgkmcnt(0)
	v_add_f32_e32 v2, v1, v2
	v_cndmask_b32_e32 v2, v1, v2, vcc
	v_or_b32_e32 v3, 8, v3
	ds_bpermute_b32 v3, v3, v2
	v_add_u32_e32 v4, 2, v4
	v_cmp_gt_u32_e64 s[0:1], s0, v4
	s_waitcnt lgkmcnt(0)
	v_add_f32_e32 v3, v2, v3
	v_cndmask_b32_e64 v2, v2, v3, s[0:1]
	v_cndmask_b32_e32 v1, v1, v2, vcc
.LBB13_213:
	s_or_b64 exec, exec, s[2:3]
.LBB13_214:
	v_cmp_eq_u32_e64 s[0:1], 0, v0
	s_branch .LBB13_224
.LBB13_215:
	s_cmp_eq_u32 s33, 1
	s_cbranch_scc0 .LBB13_223
; %bb.216:
	s_mov_b32 s1, 0
	s_lshl_b32 s0, s6, 8
	s_mov_b32 s7, s1
	s_lshr_b64 s[2:3], s[70:71], 8
	s_cmp_lg_u64 s[2:3], s[6:7]
	v_mbcnt_lo_u32_b32 v2, -1, 0
	s_cbranch_scc0 .LBB13_227
; %bb.217:
	s_lshl_b64 s[2:3], s[0:1], 2
	s_add_u32 s2, s68, s2
	s_addc_u32 s3, s69, s3
	v_lshlrev_b32_e32 v1, 2, v0
	global_load_dword v1, v1, s[2:3]
	v_mbcnt_hi_u32_b32 v3, -1, v2
	v_lshlrev_b32_e32 v4, 2, v3
	v_or_b32_e32 v5, 0xfc, v4
	v_cmp_eq_u32_e32 vcc, 0, v3
	s_waitcnt vmcnt(0)
	v_add_f32_dpp v1, v1, v1 quad_perm:[1,0,3,2] row_mask:0xf bank_mask:0xf bound_ctrl:1
	s_nop 1
	v_add_f32_dpp v1, v1, v1 quad_perm:[2,3,0,1] row_mask:0xf bank_mask:0xf bound_ctrl:1
	s_nop 1
	v_add_f32_dpp v1, v1, v1 row_ror:4 row_mask:0xf bank_mask:0xf bound_ctrl:1
	s_nop 1
	v_add_f32_dpp v1, v1, v1 row_ror:8 row_mask:0xf bank_mask:0xf bound_ctrl:1
	s_nop 1
	v_add_f32_dpp v1, v1, v1 row_bcast:15 row_mask:0xf bank_mask:0xf bound_ctrl:1
	s_nop 1
	v_add_f32_dpp v1, v1, v1 row_bcast:31 row_mask:0xf bank_mask:0xf bound_ctrl:1
	ds_bpermute_b32 v1, v5, v1
	s_and_saveexec_b64 s[2:3], vcc
	s_cbranch_execz .LBB13_219
; %bb.218:
	v_lshrrev_b32_e32 v5, 4, v0
	v_and_b32_e32 v5, 12, v5
	s_waitcnt lgkmcnt(0)
	ds_write_b32 v5, v1 offset:16
.LBB13_219:
	s_or_b64 exec, exec, s[2:3]
	v_cmp_gt_u32_e32 vcc, 64, v0
	s_waitcnt lgkmcnt(0)
	s_barrier
	s_and_saveexec_b64 s[2:3], vcc
	s_cbranch_execz .LBB13_221
; %bb.220:
	v_and_b32_e32 v1, 3, v3
	v_lshlrev_b32_e32 v5, 2, v1
	ds_read_b32 v5, v5 offset:16
	v_cmp_ne_u32_e32 vcc, 3, v1
	v_addc_co_u32_e32 v1, vcc, 0, v3, vcc
	v_lshlrev_b32_e32 v1, 2, v1
	s_waitcnt lgkmcnt(0)
	ds_bpermute_b32 v1, v1, v5
	v_or_b32_e32 v3, 8, v4
	s_waitcnt lgkmcnt(0)
	v_add_f32_e32 v1, v5, v1
	ds_bpermute_b32 v3, v3, v1
	s_waitcnt lgkmcnt(0)
	v_add_f32_e32 v1, v1, v3
.LBB13_221:
	s_or_b64 exec, exec, s[2:3]
.LBB13_222:
	v_cmp_eq_u32_e64 s[0:1], 0, v0
	s_and_saveexec_b64 s[2:3], s[0:1]
	s_cbranch_execnz .LBB13_225
	s_branch .LBB13_226
.LBB13_223:
                                        ; implicit-def: $vgpr1
                                        ; implicit-def: $sgpr6_sgpr7
.LBB13_224:
	s_and_saveexec_b64 s[2:3], s[0:1]
	s_cbranch_execz .LBB13_226
.LBB13_225:
	s_load_dwordx2 s[0:1], s[4:5], 0x18
	s_load_dword s8, s[4:5], 0x20
	s_lshl_b64 s[2:3], s[6:7], 2
	v_mov_b32_e32 v0, 0
	s_waitcnt lgkmcnt(0)
	s_add_u32 s0, s0, s2
	s_addc_u32 s1, s1, s3
	s_cmp_eq_u64 s[70:71], 0
	v_add_f32_e32 v1, s8, v1
	v_mov_b32_e32 v2, s8
	s_cselect_b64 vcc, -1, 0
	v_cndmask_b32_e32 v1, v1, v2, vcc
	global_store_dword v0, v1, s[0:1]
.LBB13_226:
	s_endpgm
.LBB13_227:
                                        ; implicit-def: $vgpr1
	s_cbranch_execz .LBB13_222
; %bb.228:
	s_sub_i32 s8, s70, s0
	v_cmp_gt_u32_e32 vcc, s8, v0
                                        ; implicit-def: $vgpr1
	s_and_saveexec_b64 s[2:3], vcc
	s_cbranch_execz .LBB13_230
; %bb.229:
	s_lshl_b64 s[0:1], s[0:1], 2
	s_add_u32 s0, s68, s0
	s_addc_u32 s1, s69, s1
	v_lshlrev_b32_e32 v1, 2, v0
	global_load_dword v1, v1, s[0:1]
.LBB13_230:
	s_or_b64 exec, exec, s[2:3]
	v_mbcnt_hi_u32_b32 v2, -1, v2
	v_and_b32_e32 v4, 63, v2
	v_cmp_ne_u32_e32 vcc, 63, v4
	v_addc_co_u32_e32 v3, vcc, 0, v2, vcc
	v_lshlrev_b32_e32 v3, 2, v3
	s_waitcnt vmcnt(0)
	ds_bpermute_b32 v3, v3, v1
	s_min_u32 s8, s8, 0x100
	v_and_b32_e32 v5, 0xc0, v0
	v_sub_u32_e64 v5, s8, v5 clamp
	v_add_u32_e32 v6, 1, v4
	v_cmp_gt_u32_e64 s[0:1], 62, v4
	s_waitcnt lgkmcnt(0)
	v_add_f32_e32 v3, v1, v3
	v_cmp_lt_u32_e32 vcc, v6, v5
	v_cndmask_b32_e64 v6, 0, 2, s[0:1]
	v_cndmask_b32_e32 v3, v1, v3, vcc
	v_add_lshl_u32 v6, v6, v2, 2
	ds_bpermute_b32 v6, v6, v3
	v_add_u32_e32 v7, 2, v4
	v_cmp_lt_u32_e64 s[0:1], v7, v5
	v_add_u32_e32 v7, 4, v4
	s_waitcnt lgkmcnt(0)
	v_add_f32_e32 v6, v3, v6
	v_cndmask_b32_e64 v3, v3, v6, s[0:1]
	v_cmp_gt_u32_e64 s[0:1], 60, v4
	v_cndmask_b32_e64 v6, 0, 4, s[0:1]
	v_add_lshl_u32 v6, v6, v2, 2
	ds_bpermute_b32 v6, v6, v3
	v_cmp_lt_u32_e64 s[0:1], v7, v5
	v_add_u32_e32 v7, 8, v4
	s_waitcnt lgkmcnt(0)
	v_add_f32_e32 v6, v3, v6
	v_cndmask_b32_e64 v3, v3, v6, s[0:1]
	v_cmp_gt_u32_e64 s[0:1], 56, v4
	v_cndmask_b32_e64 v6, 0, 8, s[0:1]
	v_add_lshl_u32 v6, v6, v2, 2
	ds_bpermute_b32 v6, v6, v3
	;; [unrolled: 9-line block ×3, first 2 shown]
	v_cmp_lt_u32_e64 s[0:1], v7, v5
	v_add_u32_e32 v4, 32, v4
	s_waitcnt lgkmcnt(0)
	v_add_f32_e32 v6, v3, v6
	v_cndmask_b32_e64 v6, v3, v6, s[0:1]
	v_lshlrev_b32_e32 v3, 2, v2
	v_or_b32_e32 v7, 0x80, v3
	ds_bpermute_b32 v7, v7, v6
	v_cmp_lt_u32_e64 s[0:1], v4, v5
	s_waitcnt lgkmcnt(0)
	v_add_f32_e32 v7, v6, v7
	v_cndmask_b32_e64 v4, v6, v7, s[0:1]
	v_cndmask_b32_e32 v1, v1, v4, vcc
	v_cmp_eq_u32_e32 vcc, 0, v2
	s_and_saveexec_b64 s[0:1], vcc
; %bb.231:
	v_lshrrev_b32_e32 v4, 4, v0
	v_and_b32_e32 v4, 12, v4
	ds_write_b32 v4, v1 offset:96
; %bb.232:
	s_or_b64 exec, exec, s[0:1]
	v_cmp_gt_u32_e32 vcc, 4, v0
	s_waitcnt lgkmcnt(0)
	s_barrier
	s_and_saveexec_b64 s[2:3], vcc
	s_cbranch_execz .LBB13_234
; %bb.233:
	ds_read_b32 v1, v3 offset:96
	v_and_b32_e32 v4, 3, v2
	v_cmp_ne_u32_e32 vcc, 3, v4
	v_addc_co_u32_e32 v2, vcc, 0, v2, vcc
	v_lshlrev_b32_e32 v2, 2, v2
	s_waitcnt lgkmcnt(0)
	ds_bpermute_b32 v2, v2, v1
	s_add_i32 s8, s8, 63
	s_lshr_b32 s0, s8, 6
	v_add_u32_e32 v5, 1, v4
	v_cmp_gt_u32_e32 vcc, s0, v5
	s_waitcnt lgkmcnt(0)
	v_add_f32_e32 v2, v1, v2
	v_cndmask_b32_e32 v2, v1, v2, vcc
	v_or_b32_e32 v3, 8, v3
	ds_bpermute_b32 v3, v3, v2
	v_add_u32_e32 v4, 2, v4
	v_cmp_gt_u32_e64 s[0:1], s0, v4
	s_waitcnt lgkmcnt(0)
	v_add_f32_e32 v3, v2, v3
	v_cndmask_b32_e64 v2, v2, v3, s[0:1]
	v_cndmask_b32_e32 v1, v1, v2, vcc
.LBB13_234:
	s_or_b64 exec, exec, s[2:3]
	v_cmp_eq_u32_e64 s[0:1], 0, v0
	s_and_saveexec_b64 s[2:3], s[0:1]
	s_cbranch_execnz .LBB13_225
	s_branch .LBB13_226
	.section	.rodata,"a",@progbits
	.p2align	6, 0x0
	.amdhsa_kernel _ZN7rocprim17ROCPRIM_400000_NS6detail17trampoline_kernelINS0_14default_configENS1_22reduce_config_selectorIfEEZNS1_11reduce_implILb1ES3_PfS7_fN6thrust23THRUST_200600_302600_NS4plusIfEEEE10hipError_tPvRmT1_T2_T3_mT4_P12ihipStream_tbEUlT_E1_NS1_11comp_targetILNS1_3genE2ELNS1_11target_archE906ELNS1_3gpuE6ELNS1_3repE0EEENS1_30default_config_static_selectorELNS0_4arch9wavefront6targetE1EEEvSF_
		.amdhsa_group_segment_fixed_size 112
		.amdhsa_private_segment_fixed_size 0
		.amdhsa_kernarg_size 40
		.amdhsa_user_sgpr_count 6
		.amdhsa_user_sgpr_private_segment_buffer 1
		.amdhsa_user_sgpr_dispatch_ptr 0
		.amdhsa_user_sgpr_queue_ptr 0
		.amdhsa_user_sgpr_kernarg_segment_ptr 1
		.amdhsa_user_sgpr_dispatch_id 0
		.amdhsa_user_sgpr_flat_scratch_init 0
		.amdhsa_user_sgpr_private_segment_size 0
		.amdhsa_uses_dynamic_stack 0
		.amdhsa_system_sgpr_private_segment_wavefront_offset 0
		.amdhsa_system_sgpr_workgroup_id_x 1
		.amdhsa_system_sgpr_workgroup_id_y 0
		.amdhsa_system_sgpr_workgroup_id_z 0
		.amdhsa_system_sgpr_workgroup_info 0
		.amdhsa_system_vgpr_workitem_id 0
		.amdhsa_next_free_vgpr 39
		.amdhsa_next_free_sgpr 77
		.amdhsa_reserve_vcc 1
		.amdhsa_reserve_flat_scratch 0
		.amdhsa_float_round_mode_32 0
		.amdhsa_float_round_mode_16_64 0
		.amdhsa_float_denorm_mode_32 3
		.amdhsa_float_denorm_mode_16_64 3
		.amdhsa_dx10_clamp 1
		.amdhsa_ieee_mode 1
		.amdhsa_fp16_overflow 0
		.amdhsa_exception_fp_ieee_invalid_op 0
		.amdhsa_exception_fp_denorm_src 0
		.amdhsa_exception_fp_ieee_div_zero 0
		.amdhsa_exception_fp_ieee_overflow 0
		.amdhsa_exception_fp_ieee_underflow 0
		.amdhsa_exception_fp_ieee_inexact 0
		.amdhsa_exception_int_div_zero 0
	.end_amdhsa_kernel
	.section	.text._ZN7rocprim17ROCPRIM_400000_NS6detail17trampoline_kernelINS0_14default_configENS1_22reduce_config_selectorIfEEZNS1_11reduce_implILb1ES3_PfS7_fN6thrust23THRUST_200600_302600_NS4plusIfEEEE10hipError_tPvRmT1_T2_T3_mT4_P12ihipStream_tbEUlT_E1_NS1_11comp_targetILNS1_3genE2ELNS1_11target_archE906ELNS1_3gpuE6ELNS1_3repE0EEENS1_30default_config_static_selectorELNS0_4arch9wavefront6targetE1EEEvSF_,"axG",@progbits,_ZN7rocprim17ROCPRIM_400000_NS6detail17trampoline_kernelINS0_14default_configENS1_22reduce_config_selectorIfEEZNS1_11reduce_implILb1ES3_PfS7_fN6thrust23THRUST_200600_302600_NS4plusIfEEEE10hipError_tPvRmT1_T2_T3_mT4_P12ihipStream_tbEUlT_E1_NS1_11comp_targetILNS1_3genE2ELNS1_11target_archE906ELNS1_3gpuE6ELNS1_3repE0EEENS1_30default_config_static_selectorELNS0_4arch9wavefront6targetE1EEEvSF_,comdat
.Lfunc_end13:
	.size	_ZN7rocprim17ROCPRIM_400000_NS6detail17trampoline_kernelINS0_14default_configENS1_22reduce_config_selectorIfEEZNS1_11reduce_implILb1ES3_PfS7_fN6thrust23THRUST_200600_302600_NS4plusIfEEEE10hipError_tPvRmT1_T2_T3_mT4_P12ihipStream_tbEUlT_E1_NS1_11comp_targetILNS1_3genE2ELNS1_11target_archE906ELNS1_3gpuE6ELNS1_3repE0EEENS1_30default_config_static_selectorELNS0_4arch9wavefront6targetE1EEEvSF_, .Lfunc_end13-_ZN7rocprim17ROCPRIM_400000_NS6detail17trampoline_kernelINS0_14default_configENS1_22reduce_config_selectorIfEEZNS1_11reduce_implILb1ES3_PfS7_fN6thrust23THRUST_200600_302600_NS4plusIfEEEE10hipError_tPvRmT1_T2_T3_mT4_P12ihipStream_tbEUlT_E1_NS1_11comp_targetILNS1_3genE2ELNS1_11target_archE906ELNS1_3gpuE6ELNS1_3repE0EEENS1_30default_config_static_selectorELNS0_4arch9wavefront6targetE1EEEvSF_
                                        ; -- End function
	.set _ZN7rocprim17ROCPRIM_400000_NS6detail17trampoline_kernelINS0_14default_configENS1_22reduce_config_selectorIfEEZNS1_11reduce_implILb1ES3_PfS7_fN6thrust23THRUST_200600_302600_NS4plusIfEEEE10hipError_tPvRmT1_T2_T3_mT4_P12ihipStream_tbEUlT_E1_NS1_11comp_targetILNS1_3genE2ELNS1_11target_archE906ELNS1_3gpuE6ELNS1_3repE0EEENS1_30default_config_static_selectorELNS0_4arch9wavefront6targetE1EEEvSF_.num_vgpr, 39
	.set _ZN7rocprim17ROCPRIM_400000_NS6detail17trampoline_kernelINS0_14default_configENS1_22reduce_config_selectorIfEEZNS1_11reduce_implILb1ES3_PfS7_fN6thrust23THRUST_200600_302600_NS4plusIfEEEE10hipError_tPvRmT1_T2_T3_mT4_P12ihipStream_tbEUlT_E1_NS1_11comp_targetILNS1_3genE2ELNS1_11target_archE906ELNS1_3gpuE6ELNS1_3repE0EEENS1_30default_config_static_selectorELNS0_4arch9wavefront6targetE1EEEvSF_.num_agpr, 0
	.set _ZN7rocprim17ROCPRIM_400000_NS6detail17trampoline_kernelINS0_14default_configENS1_22reduce_config_selectorIfEEZNS1_11reduce_implILb1ES3_PfS7_fN6thrust23THRUST_200600_302600_NS4plusIfEEEE10hipError_tPvRmT1_T2_T3_mT4_P12ihipStream_tbEUlT_E1_NS1_11comp_targetILNS1_3genE2ELNS1_11target_archE906ELNS1_3gpuE6ELNS1_3repE0EEENS1_30default_config_static_selectorELNS0_4arch9wavefront6targetE1EEEvSF_.numbered_sgpr, 77
	.set _ZN7rocprim17ROCPRIM_400000_NS6detail17trampoline_kernelINS0_14default_configENS1_22reduce_config_selectorIfEEZNS1_11reduce_implILb1ES3_PfS7_fN6thrust23THRUST_200600_302600_NS4plusIfEEEE10hipError_tPvRmT1_T2_T3_mT4_P12ihipStream_tbEUlT_E1_NS1_11comp_targetILNS1_3genE2ELNS1_11target_archE906ELNS1_3gpuE6ELNS1_3repE0EEENS1_30default_config_static_selectorELNS0_4arch9wavefront6targetE1EEEvSF_.num_named_barrier, 0
	.set _ZN7rocprim17ROCPRIM_400000_NS6detail17trampoline_kernelINS0_14default_configENS1_22reduce_config_selectorIfEEZNS1_11reduce_implILb1ES3_PfS7_fN6thrust23THRUST_200600_302600_NS4plusIfEEEE10hipError_tPvRmT1_T2_T3_mT4_P12ihipStream_tbEUlT_E1_NS1_11comp_targetILNS1_3genE2ELNS1_11target_archE906ELNS1_3gpuE6ELNS1_3repE0EEENS1_30default_config_static_selectorELNS0_4arch9wavefront6targetE1EEEvSF_.private_seg_size, 0
	.set _ZN7rocprim17ROCPRIM_400000_NS6detail17trampoline_kernelINS0_14default_configENS1_22reduce_config_selectorIfEEZNS1_11reduce_implILb1ES3_PfS7_fN6thrust23THRUST_200600_302600_NS4plusIfEEEE10hipError_tPvRmT1_T2_T3_mT4_P12ihipStream_tbEUlT_E1_NS1_11comp_targetILNS1_3genE2ELNS1_11target_archE906ELNS1_3gpuE6ELNS1_3repE0EEENS1_30default_config_static_selectorELNS0_4arch9wavefront6targetE1EEEvSF_.uses_vcc, 1
	.set _ZN7rocprim17ROCPRIM_400000_NS6detail17trampoline_kernelINS0_14default_configENS1_22reduce_config_selectorIfEEZNS1_11reduce_implILb1ES3_PfS7_fN6thrust23THRUST_200600_302600_NS4plusIfEEEE10hipError_tPvRmT1_T2_T3_mT4_P12ihipStream_tbEUlT_E1_NS1_11comp_targetILNS1_3genE2ELNS1_11target_archE906ELNS1_3gpuE6ELNS1_3repE0EEENS1_30default_config_static_selectorELNS0_4arch9wavefront6targetE1EEEvSF_.uses_flat_scratch, 0
	.set _ZN7rocprim17ROCPRIM_400000_NS6detail17trampoline_kernelINS0_14default_configENS1_22reduce_config_selectorIfEEZNS1_11reduce_implILb1ES3_PfS7_fN6thrust23THRUST_200600_302600_NS4plusIfEEEE10hipError_tPvRmT1_T2_T3_mT4_P12ihipStream_tbEUlT_E1_NS1_11comp_targetILNS1_3genE2ELNS1_11target_archE906ELNS1_3gpuE6ELNS1_3repE0EEENS1_30default_config_static_selectorELNS0_4arch9wavefront6targetE1EEEvSF_.has_dyn_sized_stack, 0
	.set _ZN7rocprim17ROCPRIM_400000_NS6detail17trampoline_kernelINS0_14default_configENS1_22reduce_config_selectorIfEEZNS1_11reduce_implILb1ES3_PfS7_fN6thrust23THRUST_200600_302600_NS4plusIfEEEE10hipError_tPvRmT1_T2_T3_mT4_P12ihipStream_tbEUlT_E1_NS1_11comp_targetILNS1_3genE2ELNS1_11target_archE906ELNS1_3gpuE6ELNS1_3repE0EEENS1_30default_config_static_selectorELNS0_4arch9wavefront6targetE1EEEvSF_.has_recursion, 0
	.set _ZN7rocprim17ROCPRIM_400000_NS6detail17trampoline_kernelINS0_14default_configENS1_22reduce_config_selectorIfEEZNS1_11reduce_implILb1ES3_PfS7_fN6thrust23THRUST_200600_302600_NS4plusIfEEEE10hipError_tPvRmT1_T2_T3_mT4_P12ihipStream_tbEUlT_E1_NS1_11comp_targetILNS1_3genE2ELNS1_11target_archE906ELNS1_3gpuE6ELNS1_3repE0EEENS1_30default_config_static_selectorELNS0_4arch9wavefront6targetE1EEEvSF_.has_indirect_call, 0
	.section	.AMDGPU.csdata,"",@progbits
; Kernel info:
; codeLenInByte = 9788
; TotalNumSgprs: 81
; NumVgprs: 39
; ScratchSize: 0
; MemoryBound: 0
; FloatMode: 240
; IeeeMode: 1
; LDSByteSize: 112 bytes/workgroup (compile time only)
; SGPRBlocks: 10
; VGPRBlocks: 9
; NumSGPRsForWavesPerEU: 81
; NumVGPRsForWavesPerEU: 39
; Occupancy: 6
; WaveLimiterHint : 1
; COMPUTE_PGM_RSRC2:SCRATCH_EN: 0
; COMPUTE_PGM_RSRC2:USER_SGPR: 6
; COMPUTE_PGM_RSRC2:TRAP_HANDLER: 0
; COMPUTE_PGM_RSRC2:TGID_X_EN: 1
; COMPUTE_PGM_RSRC2:TGID_Y_EN: 0
; COMPUTE_PGM_RSRC2:TGID_Z_EN: 0
; COMPUTE_PGM_RSRC2:TIDIG_COMP_CNT: 0
	.section	.text._ZN7rocprim17ROCPRIM_400000_NS6detail17trampoline_kernelINS0_14default_configENS1_22reduce_config_selectorIfEEZNS1_11reduce_implILb1ES3_PfS7_fN6thrust23THRUST_200600_302600_NS4plusIfEEEE10hipError_tPvRmT1_T2_T3_mT4_P12ihipStream_tbEUlT_E1_NS1_11comp_targetILNS1_3genE10ELNS1_11target_archE1201ELNS1_3gpuE5ELNS1_3repE0EEENS1_30default_config_static_selectorELNS0_4arch9wavefront6targetE1EEEvSF_,"axG",@progbits,_ZN7rocprim17ROCPRIM_400000_NS6detail17trampoline_kernelINS0_14default_configENS1_22reduce_config_selectorIfEEZNS1_11reduce_implILb1ES3_PfS7_fN6thrust23THRUST_200600_302600_NS4plusIfEEEE10hipError_tPvRmT1_T2_T3_mT4_P12ihipStream_tbEUlT_E1_NS1_11comp_targetILNS1_3genE10ELNS1_11target_archE1201ELNS1_3gpuE5ELNS1_3repE0EEENS1_30default_config_static_selectorELNS0_4arch9wavefront6targetE1EEEvSF_,comdat
	.protected	_ZN7rocprim17ROCPRIM_400000_NS6detail17trampoline_kernelINS0_14default_configENS1_22reduce_config_selectorIfEEZNS1_11reduce_implILb1ES3_PfS7_fN6thrust23THRUST_200600_302600_NS4plusIfEEEE10hipError_tPvRmT1_T2_T3_mT4_P12ihipStream_tbEUlT_E1_NS1_11comp_targetILNS1_3genE10ELNS1_11target_archE1201ELNS1_3gpuE5ELNS1_3repE0EEENS1_30default_config_static_selectorELNS0_4arch9wavefront6targetE1EEEvSF_ ; -- Begin function _ZN7rocprim17ROCPRIM_400000_NS6detail17trampoline_kernelINS0_14default_configENS1_22reduce_config_selectorIfEEZNS1_11reduce_implILb1ES3_PfS7_fN6thrust23THRUST_200600_302600_NS4plusIfEEEE10hipError_tPvRmT1_T2_T3_mT4_P12ihipStream_tbEUlT_E1_NS1_11comp_targetILNS1_3genE10ELNS1_11target_archE1201ELNS1_3gpuE5ELNS1_3repE0EEENS1_30default_config_static_selectorELNS0_4arch9wavefront6targetE1EEEvSF_
	.globl	_ZN7rocprim17ROCPRIM_400000_NS6detail17trampoline_kernelINS0_14default_configENS1_22reduce_config_selectorIfEEZNS1_11reduce_implILb1ES3_PfS7_fN6thrust23THRUST_200600_302600_NS4plusIfEEEE10hipError_tPvRmT1_T2_T3_mT4_P12ihipStream_tbEUlT_E1_NS1_11comp_targetILNS1_3genE10ELNS1_11target_archE1201ELNS1_3gpuE5ELNS1_3repE0EEENS1_30default_config_static_selectorELNS0_4arch9wavefront6targetE1EEEvSF_
	.p2align	8
	.type	_ZN7rocprim17ROCPRIM_400000_NS6detail17trampoline_kernelINS0_14default_configENS1_22reduce_config_selectorIfEEZNS1_11reduce_implILb1ES3_PfS7_fN6thrust23THRUST_200600_302600_NS4plusIfEEEE10hipError_tPvRmT1_T2_T3_mT4_P12ihipStream_tbEUlT_E1_NS1_11comp_targetILNS1_3genE10ELNS1_11target_archE1201ELNS1_3gpuE5ELNS1_3repE0EEENS1_30default_config_static_selectorELNS0_4arch9wavefront6targetE1EEEvSF_,@function
_ZN7rocprim17ROCPRIM_400000_NS6detail17trampoline_kernelINS0_14default_configENS1_22reduce_config_selectorIfEEZNS1_11reduce_implILb1ES3_PfS7_fN6thrust23THRUST_200600_302600_NS4plusIfEEEE10hipError_tPvRmT1_T2_T3_mT4_P12ihipStream_tbEUlT_E1_NS1_11comp_targetILNS1_3genE10ELNS1_11target_archE1201ELNS1_3gpuE5ELNS1_3repE0EEENS1_30default_config_static_selectorELNS0_4arch9wavefront6targetE1EEEvSF_: ; @_ZN7rocprim17ROCPRIM_400000_NS6detail17trampoline_kernelINS0_14default_configENS1_22reduce_config_selectorIfEEZNS1_11reduce_implILb1ES3_PfS7_fN6thrust23THRUST_200600_302600_NS4plusIfEEEE10hipError_tPvRmT1_T2_T3_mT4_P12ihipStream_tbEUlT_E1_NS1_11comp_targetILNS1_3genE10ELNS1_11target_archE1201ELNS1_3gpuE5ELNS1_3repE0EEENS1_30default_config_static_selectorELNS0_4arch9wavefront6targetE1EEEvSF_
; %bb.0:
	.section	.rodata,"a",@progbits
	.p2align	6, 0x0
	.amdhsa_kernel _ZN7rocprim17ROCPRIM_400000_NS6detail17trampoline_kernelINS0_14default_configENS1_22reduce_config_selectorIfEEZNS1_11reduce_implILb1ES3_PfS7_fN6thrust23THRUST_200600_302600_NS4plusIfEEEE10hipError_tPvRmT1_T2_T3_mT4_P12ihipStream_tbEUlT_E1_NS1_11comp_targetILNS1_3genE10ELNS1_11target_archE1201ELNS1_3gpuE5ELNS1_3repE0EEENS1_30default_config_static_selectorELNS0_4arch9wavefront6targetE1EEEvSF_
		.amdhsa_group_segment_fixed_size 0
		.amdhsa_private_segment_fixed_size 0
		.amdhsa_kernarg_size 40
		.amdhsa_user_sgpr_count 6
		.amdhsa_user_sgpr_private_segment_buffer 1
		.amdhsa_user_sgpr_dispatch_ptr 0
		.amdhsa_user_sgpr_queue_ptr 0
		.amdhsa_user_sgpr_kernarg_segment_ptr 1
		.amdhsa_user_sgpr_dispatch_id 0
		.amdhsa_user_sgpr_flat_scratch_init 0
		.amdhsa_user_sgpr_private_segment_size 0
		.amdhsa_uses_dynamic_stack 0
		.amdhsa_system_sgpr_private_segment_wavefront_offset 0
		.amdhsa_system_sgpr_workgroup_id_x 1
		.amdhsa_system_sgpr_workgroup_id_y 0
		.amdhsa_system_sgpr_workgroup_id_z 0
		.amdhsa_system_sgpr_workgroup_info 0
		.amdhsa_system_vgpr_workitem_id 0
		.amdhsa_next_free_vgpr 1
		.amdhsa_next_free_sgpr 0
		.amdhsa_reserve_vcc 0
		.amdhsa_reserve_flat_scratch 0
		.amdhsa_float_round_mode_32 0
		.amdhsa_float_round_mode_16_64 0
		.amdhsa_float_denorm_mode_32 3
		.amdhsa_float_denorm_mode_16_64 3
		.amdhsa_dx10_clamp 1
		.amdhsa_ieee_mode 1
		.amdhsa_fp16_overflow 0
		.amdhsa_exception_fp_ieee_invalid_op 0
		.amdhsa_exception_fp_denorm_src 0
		.amdhsa_exception_fp_ieee_div_zero 0
		.amdhsa_exception_fp_ieee_overflow 0
		.amdhsa_exception_fp_ieee_underflow 0
		.amdhsa_exception_fp_ieee_inexact 0
		.amdhsa_exception_int_div_zero 0
	.end_amdhsa_kernel
	.section	.text._ZN7rocprim17ROCPRIM_400000_NS6detail17trampoline_kernelINS0_14default_configENS1_22reduce_config_selectorIfEEZNS1_11reduce_implILb1ES3_PfS7_fN6thrust23THRUST_200600_302600_NS4plusIfEEEE10hipError_tPvRmT1_T2_T3_mT4_P12ihipStream_tbEUlT_E1_NS1_11comp_targetILNS1_3genE10ELNS1_11target_archE1201ELNS1_3gpuE5ELNS1_3repE0EEENS1_30default_config_static_selectorELNS0_4arch9wavefront6targetE1EEEvSF_,"axG",@progbits,_ZN7rocprim17ROCPRIM_400000_NS6detail17trampoline_kernelINS0_14default_configENS1_22reduce_config_selectorIfEEZNS1_11reduce_implILb1ES3_PfS7_fN6thrust23THRUST_200600_302600_NS4plusIfEEEE10hipError_tPvRmT1_T2_T3_mT4_P12ihipStream_tbEUlT_E1_NS1_11comp_targetILNS1_3genE10ELNS1_11target_archE1201ELNS1_3gpuE5ELNS1_3repE0EEENS1_30default_config_static_selectorELNS0_4arch9wavefront6targetE1EEEvSF_,comdat
.Lfunc_end14:
	.size	_ZN7rocprim17ROCPRIM_400000_NS6detail17trampoline_kernelINS0_14default_configENS1_22reduce_config_selectorIfEEZNS1_11reduce_implILb1ES3_PfS7_fN6thrust23THRUST_200600_302600_NS4plusIfEEEE10hipError_tPvRmT1_T2_T3_mT4_P12ihipStream_tbEUlT_E1_NS1_11comp_targetILNS1_3genE10ELNS1_11target_archE1201ELNS1_3gpuE5ELNS1_3repE0EEENS1_30default_config_static_selectorELNS0_4arch9wavefront6targetE1EEEvSF_, .Lfunc_end14-_ZN7rocprim17ROCPRIM_400000_NS6detail17trampoline_kernelINS0_14default_configENS1_22reduce_config_selectorIfEEZNS1_11reduce_implILb1ES3_PfS7_fN6thrust23THRUST_200600_302600_NS4plusIfEEEE10hipError_tPvRmT1_T2_T3_mT4_P12ihipStream_tbEUlT_E1_NS1_11comp_targetILNS1_3genE10ELNS1_11target_archE1201ELNS1_3gpuE5ELNS1_3repE0EEENS1_30default_config_static_selectorELNS0_4arch9wavefront6targetE1EEEvSF_
                                        ; -- End function
	.set _ZN7rocprim17ROCPRIM_400000_NS6detail17trampoline_kernelINS0_14default_configENS1_22reduce_config_selectorIfEEZNS1_11reduce_implILb1ES3_PfS7_fN6thrust23THRUST_200600_302600_NS4plusIfEEEE10hipError_tPvRmT1_T2_T3_mT4_P12ihipStream_tbEUlT_E1_NS1_11comp_targetILNS1_3genE10ELNS1_11target_archE1201ELNS1_3gpuE5ELNS1_3repE0EEENS1_30default_config_static_selectorELNS0_4arch9wavefront6targetE1EEEvSF_.num_vgpr, 0
	.set _ZN7rocprim17ROCPRIM_400000_NS6detail17trampoline_kernelINS0_14default_configENS1_22reduce_config_selectorIfEEZNS1_11reduce_implILb1ES3_PfS7_fN6thrust23THRUST_200600_302600_NS4plusIfEEEE10hipError_tPvRmT1_T2_T3_mT4_P12ihipStream_tbEUlT_E1_NS1_11comp_targetILNS1_3genE10ELNS1_11target_archE1201ELNS1_3gpuE5ELNS1_3repE0EEENS1_30default_config_static_selectorELNS0_4arch9wavefront6targetE1EEEvSF_.num_agpr, 0
	.set _ZN7rocprim17ROCPRIM_400000_NS6detail17trampoline_kernelINS0_14default_configENS1_22reduce_config_selectorIfEEZNS1_11reduce_implILb1ES3_PfS7_fN6thrust23THRUST_200600_302600_NS4plusIfEEEE10hipError_tPvRmT1_T2_T3_mT4_P12ihipStream_tbEUlT_E1_NS1_11comp_targetILNS1_3genE10ELNS1_11target_archE1201ELNS1_3gpuE5ELNS1_3repE0EEENS1_30default_config_static_selectorELNS0_4arch9wavefront6targetE1EEEvSF_.numbered_sgpr, 0
	.set _ZN7rocprim17ROCPRIM_400000_NS6detail17trampoline_kernelINS0_14default_configENS1_22reduce_config_selectorIfEEZNS1_11reduce_implILb1ES3_PfS7_fN6thrust23THRUST_200600_302600_NS4plusIfEEEE10hipError_tPvRmT1_T2_T3_mT4_P12ihipStream_tbEUlT_E1_NS1_11comp_targetILNS1_3genE10ELNS1_11target_archE1201ELNS1_3gpuE5ELNS1_3repE0EEENS1_30default_config_static_selectorELNS0_4arch9wavefront6targetE1EEEvSF_.num_named_barrier, 0
	.set _ZN7rocprim17ROCPRIM_400000_NS6detail17trampoline_kernelINS0_14default_configENS1_22reduce_config_selectorIfEEZNS1_11reduce_implILb1ES3_PfS7_fN6thrust23THRUST_200600_302600_NS4plusIfEEEE10hipError_tPvRmT1_T2_T3_mT4_P12ihipStream_tbEUlT_E1_NS1_11comp_targetILNS1_3genE10ELNS1_11target_archE1201ELNS1_3gpuE5ELNS1_3repE0EEENS1_30default_config_static_selectorELNS0_4arch9wavefront6targetE1EEEvSF_.private_seg_size, 0
	.set _ZN7rocprim17ROCPRIM_400000_NS6detail17trampoline_kernelINS0_14default_configENS1_22reduce_config_selectorIfEEZNS1_11reduce_implILb1ES3_PfS7_fN6thrust23THRUST_200600_302600_NS4plusIfEEEE10hipError_tPvRmT1_T2_T3_mT4_P12ihipStream_tbEUlT_E1_NS1_11comp_targetILNS1_3genE10ELNS1_11target_archE1201ELNS1_3gpuE5ELNS1_3repE0EEENS1_30default_config_static_selectorELNS0_4arch9wavefront6targetE1EEEvSF_.uses_vcc, 0
	.set _ZN7rocprim17ROCPRIM_400000_NS6detail17trampoline_kernelINS0_14default_configENS1_22reduce_config_selectorIfEEZNS1_11reduce_implILb1ES3_PfS7_fN6thrust23THRUST_200600_302600_NS4plusIfEEEE10hipError_tPvRmT1_T2_T3_mT4_P12ihipStream_tbEUlT_E1_NS1_11comp_targetILNS1_3genE10ELNS1_11target_archE1201ELNS1_3gpuE5ELNS1_3repE0EEENS1_30default_config_static_selectorELNS0_4arch9wavefront6targetE1EEEvSF_.uses_flat_scratch, 0
	.set _ZN7rocprim17ROCPRIM_400000_NS6detail17trampoline_kernelINS0_14default_configENS1_22reduce_config_selectorIfEEZNS1_11reduce_implILb1ES3_PfS7_fN6thrust23THRUST_200600_302600_NS4plusIfEEEE10hipError_tPvRmT1_T2_T3_mT4_P12ihipStream_tbEUlT_E1_NS1_11comp_targetILNS1_3genE10ELNS1_11target_archE1201ELNS1_3gpuE5ELNS1_3repE0EEENS1_30default_config_static_selectorELNS0_4arch9wavefront6targetE1EEEvSF_.has_dyn_sized_stack, 0
	.set _ZN7rocprim17ROCPRIM_400000_NS6detail17trampoline_kernelINS0_14default_configENS1_22reduce_config_selectorIfEEZNS1_11reduce_implILb1ES3_PfS7_fN6thrust23THRUST_200600_302600_NS4plusIfEEEE10hipError_tPvRmT1_T2_T3_mT4_P12ihipStream_tbEUlT_E1_NS1_11comp_targetILNS1_3genE10ELNS1_11target_archE1201ELNS1_3gpuE5ELNS1_3repE0EEENS1_30default_config_static_selectorELNS0_4arch9wavefront6targetE1EEEvSF_.has_recursion, 0
	.set _ZN7rocprim17ROCPRIM_400000_NS6detail17trampoline_kernelINS0_14default_configENS1_22reduce_config_selectorIfEEZNS1_11reduce_implILb1ES3_PfS7_fN6thrust23THRUST_200600_302600_NS4plusIfEEEE10hipError_tPvRmT1_T2_T3_mT4_P12ihipStream_tbEUlT_E1_NS1_11comp_targetILNS1_3genE10ELNS1_11target_archE1201ELNS1_3gpuE5ELNS1_3repE0EEENS1_30default_config_static_selectorELNS0_4arch9wavefront6targetE1EEEvSF_.has_indirect_call, 0
	.section	.AMDGPU.csdata,"",@progbits
; Kernel info:
; codeLenInByte = 0
; TotalNumSgprs: 4
; NumVgprs: 0
; ScratchSize: 0
; MemoryBound: 0
; FloatMode: 240
; IeeeMode: 1
; LDSByteSize: 0 bytes/workgroup (compile time only)
; SGPRBlocks: 0
; VGPRBlocks: 0
; NumSGPRsForWavesPerEU: 4
; NumVGPRsForWavesPerEU: 1
; Occupancy: 10
; WaveLimiterHint : 0
; COMPUTE_PGM_RSRC2:SCRATCH_EN: 0
; COMPUTE_PGM_RSRC2:USER_SGPR: 6
; COMPUTE_PGM_RSRC2:TRAP_HANDLER: 0
; COMPUTE_PGM_RSRC2:TGID_X_EN: 1
; COMPUTE_PGM_RSRC2:TGID_Y_EN: 0
; COMPUTE_PGM_RSRC2:TGID_Z_EN: 0
; COMPUTE_PGM_RSRC2:TIDIG_COMP_CNT: 0
	.section	.text._ZN7rocprim17ROCPRIM_400000_NS6detail17trampoline_kernelINS0_14default_configENS1_22reduce_config_selectorIfEEZNS1_11reduce_implILb1ES3_PfS7_fN6thrust23THRUST_200600_302600_NS4plusIfEEEE10hipError_tPvRmT1_T2_T3_mT4_P12ihipStream_tbEUlT_E1_NS1_11comp_targetILNS1_3genE10ELNS1_11target_archE1200ELNS1_3gpuE4ELNS1_3repE0EEENS1_30default_config_static_selectorELNS0_4arch9wavefront6targetE1EEEvSF_,"axG",@progbits,_ZN7rocprim17ROCPRIM_400000_NS6detail17trampoline_kernelINS0_14default_configENS1_22reduce_config_selectorIfEEZNS1_11reduce_implILb1ES3_PfS7_fN6thrust23THRUST_200600_302600_NS4plusIfEEEE10hipError_tPvRmT1_T2_T3_mT4_P12ihipStream_tbEUlT_E1_NS1_11comp_targetILNS1_3genE10ELNS1_11target_archE1200ELNS1_3gpuE4ELNS1_3repE0EEENS1_30default_config_static_selectorELNS0_4arch9wavefront6targetE1EEEvSF_,comdat
	.protected	_ZN7rocprim17ROCPRIM_400000_NS6detail17trampoline_kernelINS0_14default_configENS1_22reduce_config_selectorIfEEZNS1_11reduce_implILb1ES3_PfS7_fN6thrust23THRUST_200600_302600_NS4plusIfEEEE10hipError_tPvRmT1_T2_T3_mT4_P12ihipStream_tbEUlT_E1_NS1_11comp_targetILNS1_3genE10ELNS1_11target_archE1200ELNS1_3gpuE4ELNS1_3repE0EEENS1_30default_config_static_selectorELNS0_4arch9wavefront6targetE1EEEvSF_ ; -- Begin function _ZN7rocprim17ROCPRIM_400000_NS6detail17trampoline_kernelINS0_14default_configENS1_22reduce_config_selectorIfEEZNS1_11reduce_implILb1ES3_PfS7_fN6thrust23THRUST_200600_302600_NS4plusIfEEEE10hipError_tPvRmT1_T2_T3_mT4_P12ihipStream_tbEUlT_E1_NS1_11comp_targetILNS1_3genE10ELNS1_11target_archE1200ELNS1_3gpuE4ELNS1_3repE0EEENS1_30default_config_static_selectorELNS0_4arch9wavefront6targetE1EEEvSF_
	.globl	_ZN7rocprim17ROCPRIM_400000_NS6detail17trampoline_kernelINS0_14default_configENS1_22reduce_config_selectorIfEEZNS1_11reduce_implILb1ES3_PfS7_fN6thrust23THRUST_200600_302600_NS4plusIfEEEE10hipError_tPvRmT1_T2_T3_mT4_P12ihipStream_tbEUlT_E1_NS1_11comp_targetILNS1_3genE10ELNS1_11target_archE1200ELNS1_3gpuE4ELNS1_3repE0EEENS1_30default_config_static_selectorELNS0_4arch9wavefront6targetE1EEEvSF_
	.p2align	8
	.type	_ZN7rocprim17ROCPRIM_400000_NS6detail17trampoline_kernelINS0_14default_configENS1_22reduce_config_selectorIfEEZNS1_11reduce_implILb1ES3_PfS7_fN6thrust23THRUST_200600_302600_NS4plusIfEEEE10hipError_tPvRmT1_T2_T3_mT4_P12ihipStream_tbEUlT_E1_NS1_11comp_targetILNS1_3genE10ELNS1_11target_archE1200ELNS1_3gpuE4ELNS1_3repE0EEENS1_30default_config_static_selectorELNS0_4arch9wavefront6targetE1EEEvSF_,@function
_ZN7rocprim17ROCPRIM_400000_NS6detail17trampoline_kernelINS0_14default_configENS1_22reduce_config_selectorIfEEZNS1_11reduce_implILb1ES3_PfS7_fN6thrust23THRUST_200600_302600_NS4plusIfEEEE10hipError_tPvRmT1_T2_T3_mT4_P12ihipStream_tbEUlT_E1_NS1_11comp_targetILNS1_3genE10ELNS1_11target_archE1200ELNS1_3gpuE4ELNS1_3repE0EEENS1_30default_config_static_selectorELNS0_4arch9wavefront6targetE1EEEvSF_: ; @_ZN7rocprim17ROCPRIM_400000_NS6detail17trampoline_kernelINS0_14default_configENS1_22reduce_config_selectorIfEEZNS1_11reduce_implILb1ES3_PfS7_fN6thrust23THRUST_200600_302600_NS4plusIfEEEE10hipError_tPvRmT1_T2_T3_mT4_P12ihipStream_tbEUlT_E1_NS1_11comp_targetILNS1_3genE10ELNS1_11target_archE1200ELNS1_3gpuE4ELNS1_3repE0EEENS1_30default_config_static_selectorELNS0_4arch9wavefront6targetE1EEEvSF_
; %bb.0:
	.section	.rodata,"a",@progbits
	.p2align	6, 0x0
	.amdhsa_kernel _ZN7rocprim17ROCPRIM_400000_NS6detail17trampoline_kernelINS0_14default_configENS1_22reduce_config_selectorIfEEZNS1_11reduce_implILb1ES3_PfS7_fN6thrust23THRUST_200600_302600_NS4plusIfEEEE10hipError_tPvRmT1_T2_T3_mT4_P12ihipStream_tbEUlT_E1_NS1_11comp_targetILNS1_3genE10ELNS1_11target_archE1200ELNS1_3gpuE4ELNS1_3repE0EEENS1_30default_config_static_selectorELNS0_4arch9wavefront6targetE1EEEvSF_
		.amdhsa_group_segment_fixed_size 0
		.amdhsa_private_segment_fixed_size 0
		.amdhsa_kernarg_size 40
		.amdhsa_user_sgpr_count 6
		.amdhsa_user_sgpr_private_segment_buffer 1
		.amdhsa_user_sgpr_dispatch_ptr 0
		.amdhsa_user_sgpr_queue_ptr 0
		.amdhsa_user_sgpr_kernarg_segment_ptr 1
		.amdhsa_user_sgpr_dispatch_id 0
		.amdhsa_user_sgpr_flat_scratch_init 0
		.amdhsa_user_sgpr_private_segment_size 0
		.amdhsa_uses_dynamic_stack 0
		.amdhsa_system_sgpr_private_segment_wavefront_offset 0
		.amdhsa_system_sgpr_workgroup_id_x 1
		.amdhsa_system_sgpr_workgroup_id_y 0
		.amdhsa_system_sgpr_workgroup_id_z 0
		.amdhsa_system_sgpr_workgroup_info 0
		.amdhsa_system_vgpr_workitem_id 0
		.amdhsa_next_free_vgpr 1
		.amdhsa_next_free_sgpr 0
		.amdhsa_reserve_vcc 0
		.amdhsa_reserve_flat_scratch 0
		.amdhsa_float_round_mode_32 0
		.amdhsa_float_round_mode_16_64 0
		.amdhsa_float_denorm_mode_32 3
		.amdhsa_float_denorm_mode_16_64 3
		.amdhsa_dx10_clamp 1
		.amdhsa_ieee_mode 1
		.amdhsa_fp16_overflow 0
		.amdhsa_exception_fp_ieee_invalid_op 0
		.amdhsa_exception_fp_denorm_src 0
		.amdhsa_exception_fp_ieee_div_zero 0
		.amdhsa_exception_fp_ieee_overflow 0
		.amdhsa_exception_fp_ieee_underflow 0
		.amdhsa_exception_fp_ieee_inexact 0
		.amdhsa_exception_int_div_zero 0
	.end_amdhsa_kernel
	.section	.text._ZN7rocprim17ROCPRIM_400000_NS6detail17trampoline_kernelINS0_14default_configENS1_22reduce_config_selectorIfEEZNS1_11reduce_implILb1ES3_PfS7_fN6thrust23THRUST_200600_302600_NS4plusIfEEEE10hipError_tPvRmT1_T2_T3_mT4_P12ihipStream_tbEUlT_E1_NS1_11comp_targetILNS1_3genE10ELNS1_11target_archE1200ELNS1_3gpuE4ELNS1_3repE0EEENS1_30default_config_static_selectorELNS0_4arch9wavefront6targetE1EEEvSF_,"axG",@progbits,_ZN7rocprim17ROCPRIM_400000_NS6detail17trampoline_kernelINS0_14default_configENS1_22reduce_config_selectorIfEEZNS1_11reduce_implILb1ES3_PfS7_fN6thrust23THRUST_200600_302600_NS4plusIfEEEE10hipError_tPvRmT1_T2_T3_mT4_P12ihipStream_tbEUlT_E1_NS1_11comp_targetILNS1_3genE10ELNS1_11target_archE1200ELNS1_3gpuE4ELNS1_3repE0EEENS1_30default_config_static_selectorELNS0_4arch9wavefront6targetE1EEEvSF_,comdat
.Lfunc_end15:
	.size	_ZN7rocprim17ROCPRIM_400000_NS6detail17trampoline_kernelINS0_14default_configENS1_22reduce_config_selectorIfEEZNS1_11reduce_implILb1ES3_PfS7_fN6thrust23THRUST_200600_302600_NS4plusIfEEEE10hipError_tPvRmT1_T2_T3_mT4_P12ihipStream_tbEUlT_E1_NS1_11comp_targetILNS1_3genE10ELNS1_11target_archE1200ELNS1_3gpuE4ELNS1_3repE0EEENS1_30default_config_static_selectorELNS0_4arch9wavefront6targetE1EEEvSF_, .Lfunc_end15-_ZN7rocprim17ROCPRIM_400000_NS6detail17trampoline_kernelINS0_14default_configENS1_22reduce_config_selectorIfEEZNS1_11reduce_implILb1ES3_PfS7_fN6thrust23THRUST_200600_302600_NS4plusIfEEEE10hipError_tPvRmT1_T2_T3_mT4_P12ihipStream_tbEUlT_E1_NS1_11comp_targetILNS1_3genE10ELNS1_11target_archE1200ELNS1_3gpuE4ELNS1_3repE0EEENS1_30default_config_static_selectorELNS0_4arch9wavefront6targetE1EEEvSF_
                                        ; -- End function
	.set _ZN7rocprim17ROCPRIM_400000_NS6detail17trampoline_kernelINS0_14default_configENS1_22reduce_config_selectorIfEEZNS1_11reduce_implILb1ES3_PfS7_fN6thrust23THRUST_200600_302600_NS4plusIfEEEE10hipError_tPvRmT1_T2_T3_mT4_P12ihipStream_tbEUlT_E1_NS1_11comp_targetILNS1_3genE10ELNS1_11target_archE1200ELNS1_3gpuE4ELNS1_3repE0EEENS1_30default_config_static_selectorELNS0_4arch9wavefront6targetE1EEEvSF_.num_vgpr, 0
	.set _ZN7rocprim17ROCPRIM_400000_NS6detail17trampoline_kernelINS0_14default_configENS1_22reduce_config_selectorIfEEZNS1_11reduce_implILb1ES3_PfS7_fN6thrust23THRUST_200600_302600_NS4plusIfEEEE10hipError_tPvRmT1_T2_T3_mT4_P12ihipStream_tbEUlT_E1_NS1_11comp_targetILNS1_3genE10ELNS1_11target_archE1200ELNS1_3gpuE4ELNS1_3repE0EEENS1_30default_config_static_selectorELNS0_4arch9wavefront6targetE1EEEvSF_.num_agpr, 0
	.set _ZN7rocprim17ROCPRIM_400000_NS6detail17trampoline_kernelINS0_14default_configENS1_22reduce_config_selectorIfEEZNS1_11reduce_implILb1ES3_PfS7_fN6thrust23THRUST_200600_302600_NS4plusIfEEEE10hipError_tPvRmT1_T2_T3_mT4_P12ihipStream_tbEUlT_E1_NS1_11comp_targetILNS1_3genE10ELNS1_11target_archE1200ELNS1_3gpuE4ELNS1_3repE0EEENS1_30default_config_static_selectorELNS0_4arch9wavefront6targetE1EEEvSF_.numbered_sgpr, 0
	.set _ZN7rocprim17ROCPRIM_400000_NS6detail17trampoline_kernelINS0_14default_configENS1_22reduce_config_selectorIfEEZNS1_11reduce_implILb1ES3_PfS7_fN6thrust23THRUST_200600_302600_NS4plusIfEEEE10hipError_tPvRmT1_T2_T3_mT4_P12ihipStream_tbEUlT_E1_NS1_11comp_targetILNS1_3genE10ELNS1_11target_archE1200ELNS1_3gpuE4ELNS1_3repE0EEENS1_30default_config_static_selectorELNS0_4arch9wavefront6targetE1EEEvSF_.num_named_barrier, 0
	.set _ZN7rocprim17ROCPRIM_400000_NS6detail17trampoline_kernelINS0_14default_configENS1_22reduce_config_selectorIfEEZNS1_11reduce_implILb1ES3_PfS7_fN6thrust23THRUST_200600_302600_NS4plusIfEEEE10hipError_tPvRmT1_T2_T3_mT4_P12ihipStream_tbEUlT_E1_NS1_11comp_targetILNS1_3genE10ELNS1_11target_archE1200ELNS1_3gpuE4ELNS1_3repE0EEENS1_30default_config_static_selectorELNS0_4arch9wavefront6targetE1EEEvSF_.private_seg_size, 0
	.set _ZN7rocprim17ROCPRIM_400000_NS6detail17trampoline_kernelINS0_14default_configENS1_22reduce_config_selectorIfEEZNS1_11reduce_implILb1ES3_PfS7_fN6thrust23THRUST_200600_302600_NS4plusIfEEEE10hipError_tPvRmT1_T2_T3_mT4_P12ihipStream_tbEUlT_E1_NS1_11comp_targetILNS1_3genE10ELNS1_11target_archE1200ELNS1_3gpuE4ELNS1_3repE0EEENS1_30default_config_static_selectorELNS0_4arch9wavefront6targetE1EEEvSF_.uses_vcc, 0
	.set _ZN7rocprim17ROCPRIM_400000_NS6detail17trampoline_kernelINS0_14default_configENS1_22reduce_config_selectorIfEEZNS1_11reduce_implILb1ES3_PfS7_fN6thrust23THRUST_200600_302600_NS4plusIfEEEE10hipError_tPvRmT1_T2_T3_mT4_P12ihipStream_tbEUlT_E1_NS1_11comp_targetILNS1_3genE10ELNS1_11target_archE1200ELNS1_3gpuE4ELNS1_3repE0EEENS1_30default_config_static_selectorELNS0_4arch9wavefront6targetE1EEEvSF_.uses_flat_scratch, 0
	.set _ZN7rocprim17ROCPRIM_400000_NS6detail17trampoline_kernelINS0_14default_configENS1_22reduce_config_selectorIfEEZNS1_11reduce_implILb1ES3_PfS7_fN6thrust23THRUST_200600_302600_NS4plusIfEEEE10hipError_tPvRmT1_T2_T3_mT4_P12ihipStream_tbEUlT_E1_NS1_11comp_targetILNS1_3genE10ELNS1_11target_archE1200ELNS1_3gpuE4ELNS1_3repE0EEENS1_30default_config_static_selectorELNS0_4arch9wavefront6targetE1EEEvSF_.has_dyn_sized_stack, 0
	.set _ZN7rocprim17ROCPRIM_400000_NS6detail17trampoline_kernelINS0_14default_configENS1_22reduce_config_selectorIfEEZNS1_11reduce_implILb1ES3_PfS7_fN6thrust23THRUST_200600_302600_NS4plusIfEEEE10hipError_tPvRmT1_T2_T3_mT4_P12ihipStream_tbEUlT_E1_NS1_11comp_targetILNS1_3genE10ELNS1_11target_archE1200ELNS1_3gpuE4ELNS1_3repE0EEENS1_30default_config_static_selectorELNS0_4arch9wavefront6targetE1EEEvSF_.has_recursion, 0
	.set _ZN7rocprim17ROCPRIM_400000_NS6detail17trampoline_kernelINS0_14default_configENS1_22reduce_config_selectorIfEEZNS1_11reduce_implILb1ES3_PfS7_fN6thrust23THRUST_200600_302600_NS4plusIfEEEE10hipError_tPvRmT1_T2_T3_mT4_P12ihipStream_tbEUlT_E1_NS1_11comp_targetILNS1_3genE10ELNS1_11target_archE1200ELNS1_3gpuE4ELNS1_3repE0EEENS1_30default_config_static_selectorELNS0_4arch9wavefront6targetE1EEEvSF_.has_indirect_call, 0
	.section	.AMDGPU.csdata,"",@progbits
; Kernel info:
; codeLenInByte = 0
; TotalNumSgprs: 4
; NumVgprs: 0
; ScratchSize: 0
; MemoryBound: 0
; FloatMode: 240
; IeeeMode: 1
; LDSByteSize: 0 bytes/workgroup (compile time only)
; SGPRBlocks: 0
; VGPRBlocks: 0
; NumSGPRsForWavesPerEU: 4
; NumVGPRsForWavesPerEU: 1
; Occupancy: 10
; WaveLimiterHint : 0
; COMPUTE_PGM_RSRC2:SCRATCH_EN: 0
; COMPUTE_PGM_RSRC2:USER_SGPR: 6
; COMPUTE_PGM_RSRC2:TRAP_HANDLER: 0
; COMPUTE_PGM_RSRC2:TGID_X_EN: 1
; COMPUTE_PGM_RSRC2:TGID_Y_EN: 0
; COMPUTE_PGM_RSRC2:TGID_Z_EN: 0
; COMPUTE_PGM_RSRC2:TIDIG_COMP_CNT: 0
	.section	.text._ZN7rocprim17ROCPRIM_400000_NS6detail17trampoline_kernelINS0_14default_configENS1_22reduce_config_selectorIfEEZNS1_11reduce_implILb1ES3_PfS7_fN6thrust23THRUST_200600_302600_NS4plusIfEEEE10hipError_tPvRmT1_T2_T3_mT4_P12ihipStream_tbEUlT_E1_NS1_11comp_targetILNS1_3genE9ELNS1_11target_archE1100ELNS1_3gpuE3ELNS1_3repE0EEENS1_30default_config_static_selectorELNS0_4arch9wavefront6targetE1EEEvSF_,"axG",@progbits,_ZN7rocprim17ROCPRIM_400000_NS6detail17trampoline_kernelINS0_14default_configENS1_22reduce_config_selectorIfEEZNS1_11reduce_implILb1ES3_PfS7_fN6thrust23THRUST_200600_302600_NS4plusIfEEEE10hipError_tPvRmT1_T2_T3_mT4_P12ihipStream_tbEUlT_E1_NS1_11comp_targetILNS1_3genE9ELNS1_11target_archE1100ELNS1_3gpuE3ELNS1_3repE0EEENS1_30default_config_static_selectorELNS0_4arch9wavefront6targetE1EEEvSF_,comdat
	.protected	_ZN7rocprim17ROCPRIM_400000_NS6detail17trampoline_kernelINS0_14default_configENS1_22reduce_config_selectorIfEEZNS1_11reduce_implILb1ES3_PfS7_fN6thrust23THRUST_200600_302600_NS4plusIfEEEE10hipError_tPvRmT1_T2_T3_mT4_P12ihipStream_tbEUlT_E1_NS1_11comp_targetILNS1_3genE9ELNS1_11target_archE1100ELNS1_3gpuE3ELNS1_3repE0EEENS1_30default_config_static_selectorELNS0_4arch9wavefront6targetE1EEEvSF_ ; -- Begin function _ZN7rocprim17ROCPRIM_400000_NS6detail17trampoline_kernelINS0_14default_configENS1_22reduce_config_selectorIfEEZNS1_11reduce_implILb1ES3_PfS7_fN6thrust23THRUST_200600_302600_NS4plusIfEEEE10hipError_tPvRmT1_T2_T3_mT4_P12ihipStream_tbEUlT_E1_NS1_11comp_targetILNS1_3genE9ELNS1_11target_archE1100ELNS1_3gpuE3ELNS1_3repE0EEENS1_30default_config_static_selectorELNS0_4arch9wavefront6targetE1EEEvSF_
	.globl	_ZN7rocprim17ROCPRIM_400000_NS6detail17trampoline_kernelINS0_14default_configENS1_22reduce_config_selectorIfEEZNS1_11reduce_implILb1ES3_PfS7_fN6thrust23THRUST_200600_302600_NS4plusIfEEEE10hipError_tPvRmT1_T2_T3_mT4_P12ihipStream_tbEUlT_E1_NS1_11comp_targetILNS1_3genE9ELNS1_11target_archE1100ELNS1_3gpuE3ELNS1_3repE0EEENS1_30default_config_static_selectorELNS0_4arch9wavefront6targetE1EEEvSF_
	.p2align	8
	.type	_ZN7rocprim17ROCPRIM_400000_NS6detail17trampoline_kernelINS0_14default_configENS1_22reduce_config_selectorIfEEZNS1_11reduce_implILb1ES3_PfS7_fN6thrust23THRUST_200600_302600_NS4plusIfEEEE10hipError_tPvRmT1_T2_T3_mT4_P12ihipStream_tbEUlT_E1_NS1_11comp_targetILNS1_3genE9ELNS1_11target_archE1100ELNS1_3gpuE3ELNS1_3repE0EEENS1_30default_config_static_selectorELNS0_4arch9wavefront6targetE1EEEvSF_,@function
_ZN7rocprim17ROCPRIM_400000_NS6detail17trampoline_kernelINS0_14default_configENS1_22reduce_config_selectorIfEEZNS1_11reduce_implILb1ES3_PfS7_fN6thrust23THRUST_200600_302600_NS4plusIfEEEE10hipError_tPvRmT1_T2_T3_mT4_P12ihipStream_tbEUlT_E1_NS1_11comp_targetILNS1_3genE9ELNS1_11target_archE1100ELNS1_3gpuE3ELNS1_3repE0EEENS1_30default_config_static_selectorELNS0_4arch9wavefront6targetE1EEEvSF_: ; @_ZN7rocprim17ROCPRIM_400000_NS6detail17trampoline_kernelINS0_14default_configENS1_22reduce_config_selectorIfEEZNS1_11reduce_implILb1ES3_PfS7_fN6thrust23THRUST_200600_302600_NS4plusIfEEEE10hipError_tPvRmT1_T2_T3_mT4_P12ihipStream_tbEUlT_E1_NS1_11comp_targetILNS1_3genE9ELNS1_11target_archE1100ELNS1_3gpuE3ELNS1_3repE0EEENS1_30default_config_static_selectorELNS0_4arch9wavefront6targetE1EEEvSF_
; %bb.0:
	.section	.rodata,"a",@progbits
	.p2align	6, 0x0
	.amdhsa_kernel _ZN7rocprim17ROCPRIM_400000_NS6detail17trampoline_kernelINS0_14default_configENS1_22reduce_config_selectorIfEEZNS1_11reduce_implILb1ES3_PfS7_fN6thrust23THRUST_200600_302600_NS4plusIfEEEE10hipError_tPvRmT1_T2_T3_mT4_P12ihipStream_tbEUlT_E1_NS1_11comp_targetILNS1_3genE9ELNS1_11target_archE1100ELNS1_3gpuE3ELNS1_3repE0EEENS1_30default_config_static_selectorELNS0_4arch9wavefront6targetE1EEEvSF_
		.amdhsa_group_segment_fixed_size 0
		.amdhsa_private_segment_fixed_size 0
		.amdhsa_kernarg_size 40
		.amdhsa_user_sgpr_count 6
		.amdhsa_user_sgpr_private_segment_buffer 1
		.amdhsa_user_sgpr_dispatch_ptr 0
		.amdhsa_user_sgpr_queue_ptr 0
		.amdhsa_user_sgpr_kernarg_segment_ptr 1
		.amdhsa_user_sgpr_dispatch_id 0
		.amdhsa_user_sgpr_flat_scratch_init 0
		.amdhsa_user_sgpr_private_segment_size 0
		.amdhsa_uses_dynamic_stack 0
		.amdhsa_system_sgpr_private_segment_wavefront_offset 0
		.amdhsa_system_sgpr_workgroup_id_x 1
		.amdhsa_system_sgpr_workgroup_id_y 0
		.amdhsa_system_sgpr_workgroup_id_z 0
		.amdhsa_system_sgpr_workgroup_info 0
		.amdhsa_system_vgpr_workitem_id 0
		.amdhsa_next_free_vgpr 1
		.amdhsa_next_free_sgpr 0
		.amdhsa_reserve_vcc 0
		.amdhsa_reserve_flat_scratch 0
		.amdhsa_float_round_mode_32 0
		.amdhsa_float_round_mode_16_64 0
		.amdhsa_float_denorm_mode_32 3
		.amdhsa_float_denorm_mode_16_64 3
		.amdhsa_dx10_clamp 1
		.amdhsa_ieee_mode 1
		.amdhsa_fp16_overflow 0
		.amdhsa_exception_fp_ieee_invalid_op 0
		.amdhsa_exception_fp_denorm_src 0
		.amdhsa_exception_fp_ieee_div_zero 0
		.amdhsa_exception_fp_ieee_overflow 0
		.amdhsa_exception_fp_ieee_underflow 0
		.amdhsa_exception_fp_ieee_inexact 0
		.amdhsa_exception_int_div_zero 0
	.end_amdhsa_kernel
	.section	.text._ZN7rocprim17ROCPRIM_400000_NS6detail17trampoline_kernelINS0_14default_configENS1_22reduce_config_selectorIfEEZNS1_11reduce_implILb1ES3_PfS7_fN6thrust23THRUST_200600_302600_NS4plusIfEEEE10hipError_tPvRmT1_T2_T3_mT4_P12ihipStream_tbEUlT_E1_NS1_11comp_targetILNS1_3genE9ELNS1_11target_archE1100ELNS1_3gpuE3ELNS1_3repE0EEENS1_30default_config_static_selectorELNS0_4arch9wavefront6targetE1EEEvSF_,"axG",@progbits,_ZN7rocprim17ROCPRIM_400000_NS6detail17trampoline_kernelINS0_14default_configENS1_22reduce_config_selectorIfEEZNS1_11reduce_implILb1ES3_PfS7_fN6thrust23THRUST_200600_302600_NS4plusIfEEEE10hipError_tPvRmT1_T2_T3_mT4_P12ihipStream_tbEUlT_E1_NS1_11comp_targetILNS1_3genE9ELNS1_11target_archE1100ELNS1_3gpuE3ELNS1_3repE0EEENS1_30default_config_static_selectorELNS0_4arch9wavefront6targetE1EEEvSF_,comdat
.Lfunc_end16:
	.size	_ZN7rocprim17ROCPRIM_400000_NS6detail17trampoline_kernelINS0_14default_configENS1_22reduce_config_selectorIfEEZNS1_11reduce_implILb1ES3_PfS7_fN6thrust23THRUST_200600_302600_NS4plusIfEEEE10hipError_tPvRmT1_T2_T3_mT4_P12ihipStream_tbEUlT_E1_NS1_11comp_targetILNS1_3genE9ELNS1_11target_archE1100ELNS1_3gpuE3ELNS1_3repE0EEENS1_30default_config_static_selectorELNS0_4arch9wavefront6targetE1EEEvSF_, .Lfunc_end16-_ZN7rocprim17ROCPRIM_400000_NS6detail17trampoline_kernelINS0_14default_configENS1_22reduce_config_selectorIfEEZNS1_11reduce_implILb1ES3_PfS7_fN6thrust23THRUST_200600_302600_NS4plusIfEEEE10hipError_tPvRmT1_T2_T3_mT4_P12ihipStream_tbEUlT_E1_NS1_11comp_targetILNS1_3genE9ELNS1_11target_archE1100ELNS1_3gpuE3ELNS1_3repE0EEENS1_30default_config_static_selectorELNS0_4arch9wavefront6targetE1EEEvSF_
                                        ; -- End function
	.set _ZN7rocprim17ROCPRIM_400000_NS6detail17trampoline_kernelINS0_14default_configENS1_22reduce_config_selectorIfEEZNS1_11reduce_implILb1ES3_PfS7_fN6thrust23THRUST_200600_302600_NS4plusIfEEEE10hipError_tPvRmT1_T2_T3_mT4_P12ihipStream_tbEUlT_E1_NS1_11comp_targetILNS1_3genE9ELNS1_11target_archE1100ELNS1_3gpuE3ELNS1_3repE0EEENS1_30default_config_static_selectorELNS0_4arch9wavefront6targetE1EEEvSF_.num_vgpr, 0
	.set _ZN7rocprim17ROCPRIM_400000_NS6detail17trampoline_kernelINS0_14default_configENS1_22reduce_config_selectorIfEEZNS1_11reduce_implILb1ES3_PfS7_fN6thrust23THRUST_200600_302600_NS4plusIfEEEE10hipError_tPvRmT1_T2_T3_mT4_P12ihipStream_tbEUlT_E1_NS1_11comp_targetILNS1_3genE9ELNS1_11target_archE1100ELNS1_3gpuE3ELNS1_3repE0EEENS1_30default_config_static_selectorELNS0_4arch9wavefront6targetE1EEEvSF_.num_agpr, 0
	.set _ZN7rocprim17ROCPRIM_400000_NS6detail17trampoline_kernelINS0_14default_configENS1_22reduce_config_selectorIfEEZNS1_11reduce_implILb1ES3_PfS7_fN6thrust23THRUST_200600_302600_NS4plusIfEEEE10hipError_tPvRmT1_T2_T3_mT4_P12ihipStream_tbEUlT_E1_NS1_11comp_targetILNS1_3genE9ELNS1_11target_archE1100ELNS1_3gpuE3ELNS1_3repE0EEENS1_30default_config_static_selectorELNS0_4arch9wavefront6targetE1EEEvSF_.numbered_sgpr, 0
	.set _ZN7rocprim17ROCPRIM_400000_NS6detail17trampoline_kernelINS0_14default_configENS1_22reduce_config_selectorIfEEZNS1_11reduce_implILb1ES3_PfS7_fN6thrust23THRUST_200600_302600_NS4plusIfEEEE10hipError_tPvRmT1_T2_T3_mT4_P12ihipStream_tbEUlT_E1_NS1_11comp_targetILNS1_3genE9ELNS1_11target_archE1100ELNS1_3gpuE3ELNS1_3repE0EEENS1_30default_config_static_selectorELNS0_4arch9wavefront6targetE1EEEvSF_.num_named_barrier, 0
	.set _ZN7rocprim17ROCPRIM_400000_NS6detail17trampoline_kernelINS0_14default_configENS1_22reduce_config_selectorIfEEZNS1_11reduce_implILb1ES3_PfS7_fN6thrust23THRUST_200600_302600_NS4plusIfEEEE10hipError_tPvRmT1_T2_T3_mT4_P12ihipStream_tbEUlT_E1_NS1_11comp_targetILNS1_3genE9ELNS1_11target_archE1100ELNS1_3gpuE3ELNS1_3repE0EEENS1_30default_config_static_selectorELNS0_4arch9wavefront6targetE1EEEvSF_.private_seg_size, 0
	.set _ZN7rocprim17ROCPRIM_400000_NS6detail17trampoline_kernelINS0_14default_configENS1_22reduce_config_selectorIfEEZNS1_11reduce_implILb1ES3_PfS7_fN6thrust23THRUST_200600_302600_NS4plusIfEEEE10hipError_tPvRmT1_T2_T3_mT4_P12ihipStream_tbEUlT_E1_NS1_11comp_targetILNS1_3genE9ELNS1_11target_archE1100ELNS1_3gpuE3ELNS1_3repE0EEENS1_30default_config_static_selectorELNS0_4arch9wavefront6targetE1EEEvSF_.uses_vcc, 0
	.set _ZN7rocprim17ROCPRIM_400000_NS6detail17trampoline_kernelINS0_14default_configENS1_22reduce_config_selectorIfEEZNS1_11reduce_implILb1ES3_PfS7_fN6thrust23THRUST_200600_302600_NS4plusIfEEEE10hipError_tPvRmT1_T2_T3_mT4_P12ihipStream_tbEUlT_E1_NS1_11comp_targetILNS1_3genE9ELNS1_11target_archE1100ELNS1_3gpuE3ELNS1_3repE0EEENS1_30default_config_static_selectorELNS0_4arch9wavefront6targetE1EEEvSF_.uses_flat_scratch, 0
	.set _ZN7rocprim17ROCPRIM_400000_NS6detail17trampoline_kernelINS0_14default_configENS1_22reduce_config_selectorIfEEZNS1_11reduce_implILb1ES3_PfS7_fN6thrust23THRUST_200600_302600_NS4plusIfEEEE10hipError_tPvRmT1_T2_T3_mT4_P12ihipStream_tbEUlT_E1_NS1_11comp_targetILNS1_3genE9ELNS1_11target_archE1100ELNS1_3gpuE3ELNS1_3repE0EEENS1_30default_config_static_selectorELNS0_4arch9wavefront6targetE1EEEvSF_.has_dyn_sized_stack, 0
	.set _ZN7rocprim17ROCPRIM_400000_NS6detail17trampoline_kernelINS0_14default_configENS1_22reduce_config_selectorIfEEZNS1_11reduce_implILb1ES3_PfS7_fN6thrust23THRUST_200600_302600_NS4plusIfEEEE10hipError_tPvRmT1_T2_T3_mT4_P12ihipStream_tbEUlT_E1_NS1_11comp_targetILNS1_3genE9ELNS1_11target_archE1100ELNS1_3gpuE3ELNS1_3repE0EEENS1_30default_config_static_selectorELNS0_4arch9wavefront6targetE1EEEvSF_.has_recursion, 0
	.set _ZN7rocprim17ROCPRIM_400000_NS6detail17trampoline_kernelINS0_14default_configENS1_22reduce_config_selectorIfEEZNS1_11reduce_implILb1ES3_PfS7_fN6thrust23THRUST_200600_302600_NS4plusIfEEEE10hipError_tPvRmT1_T2_T3_mT4_P12ihipStream_tbEUlT_E1_NS1_11comp_targetILNS1_3genE9ELNS1_11target_archE1100ELNS1_3gpuE3ELNS1_3repE0EEENS1_30default_config_static_selectorELNS0_4arch9wavefront6targetE1EEEvSF_.has_indirect_call, 0
	.section	.AMDGPU.csdata,"",@progbits
; Kernel info:
; codeLenInByte = 0
; TotalNumSgprs: 4
; NumVgprs: 0
; ScratchSize: 0
; MemoryBound: 0
; FloatMode: 240
; IeeeMode: 1
; LDSByteSize: 0 bytes/workgroup (compile time only)
; SGPRBlocks: 0
; VGPRBlocks: 0
; NumSGPRsForWavesPerEU: 4
; NumVGPRsForWavesPerEU: 1
; Occupancy: 10
; WaveLimiterHint : 0
; COMPUTE_PGM_RSRC2:SCRATCH_EN: 0
; COMPUTE_PGM_RSRC2:USER_SGPR: 6
; COMPUTE_PGM_RSRC2:TRAP_HANDLER: 0
; COMPUTE_PGM_RSRC2:TGID_X_EN: 1
; COMPUTE_PGM_RSRC2:TGID_Y_EN: 0
; COMPUTE_PGM_RSRC2:TGID_Z_EN: 0
; COMPUTE_PGM_RSRC2:TIDIG_COMP_CNT: 0
	.section	.text._ZN7rocprim17ROCPRIM_400000_NS6detail17trampoline_kernelINS0_14default_configENS1_22reduce_config_selectorIfEEZNS1_11reduce_implILb1ES3_PfS7_fN6thrust23THRUST_200600_302600_NS4plusIfEEEE10hipError_tPvRmT1_T2_T3_mT4_P12ihipStream_tbEUlT_E1_NS1_11comp_targetILNS1_3genE8ELNS1_11target_archE1030ELNS1_3gpuE2ELNS1_3repE0EEENS1_30default_config_static_selectorELNS0_4arch9wavefront6targetE1EEEvSF_,"axG",@progbits,_ZN7rocprim17ROCPRIM_400000_NS6detail17trampoline_kernelINS0_14default_configENS1_22reduce_config_selectorIfEEZNS1_11reduce_implILb1ES3_PfS7_fN6thrust23THRUST_200600_302600_NS4plusIfEEEE10hipError_tPvRmT1_T2_T3_mT4_P12ihipStream_tbEUlT_E1_NS1_11comp_targetILNS1_3genE8ELNS1_11target_archE1030ELNS1_3gpuE2ELNS1_3repE0EEENS1_30default_config_static_selectorELNS0_4arch9wavefront6targetE1EEEvSF_,comdat
	.protected	_ZN7rocprim17ROCPRIM_400000_NS6detail17trampoline_kernelINS0_14default_configENS1_22reduce_config_selectorIfEEZNS1_11reduce_implILb1ES3_PfS7_fN6thrust23THRUST_200600_302600_NS4plusIfEEEE10hipError_tPvRmT1_T2_T3_mT4_P12ihipStream_tbEUlT_E1_NS1_11comp_targetILNS1_3genE8ELNS1_11target_archE1030ELNS1_3gpuE2ELNS1_3repE0EEENS1_30default_config_static_selectorELNS0_4arch9wavefront6targetE1EEEvSF_ ; -- Begin function _ZN7rocprim17ROCPRIM_400000_NS6detail17trampoline_kernelINS0_14default_configENS1_22reduce_config_selectorIfEEZNS1_11reduce_implILb1ES3_PfS7_fN6thrust23THRUST_200600_302600_NS4plusIfEEEE10hipError_tPvRmT1_T2_T3_mT4_P12ihipStream_tbEUlT_E1_NS1_11comp_targetILNS1_3genE8ELNS1_11target_archE1030ELNS1_3gpuE2ELNS1_3repE0EEENS1_30default_config_static_selectorELNS0_4arch9wavefront6targetE1EEEvSF_
	.globl	_ZN7rocprim17ROCPRIM_400000_NS6detail17trampoline_kernelINS0_14default_configENS1_22reduce_config_selectorIfEEZNS1_11reduce_implILb1ES3_PfS7_fN6thrust23THRUST_200600_302600_NS4plusIfEEEE10hipError_tPvRmT1_T2_T3_mT4_P12ihipStream_tbEUlT_E1_NS1_11comp_targetILNS1_3genE8ELNS1_11target_archE1030ELNS1_3gpuE2ELNS1_3repE0EEENS1_30default_config_static_selectorELNS0_4arch9wavefront6targetE1EEEvSF_
	.p2align	8
	.type	_ZN7rocprim17ROCPRIM_400000_NS6detail17trampoline_kernelINS0_14default_configENS1_22reduce_config_selectorIfEEZNS1_11reduce_implILb1ES3_PfS7_fN6thrust23THRUST_200600_302600_NS4plusIfEEEE10hipError_tPvRmT1_T2_T3_mT4_P12ihipStream_tbEUlT_E1_NS1_11comp_targetILNS1_3genE8ELNS1_11target_archE1030ELNS1_3gpuE2ELNS1_3repE0EEENS1_30default_config_static_selectorELNS0_4arch9wavefront6targetE1EEEvSF_,@function
_ZN7rocprim17ROCPRIM_400000_NS6detail17trampoline_kernelINS0_14default_configENS1_22reduce_config_selectorIfEEZNS1_11reduce_implILb1ES3_PfS7_fN6thrust23THRUST_200600_302600_NS4plusIfEEEE10hipError_tPvRmT1_T2_T3_mT4_P12ihipStream_tbEUlT_E1_NS1_11comp_targetILNS1_3genE8ELNS1_11target_archE1030ELNS1_3gpuE2ELNS1_3repE0EEENS1_30default_config_static_selectorELNS0_4arch9wavefront6targetE1EEEvSF_: ; @_ZN7rocprim17ROCPRIM_400000_NS6detail17trampoline_kernelINS0_14default_configENS1_22reduce_config_selectorIfEEZNS1_11reduce_implILb1ES3_PfS7_fN6thrust23THRUST_200600_302600_NS4plusIfEEEE10hipError_tPvRmT1_T2_T3_mT4_P12ihipStream_tbEUlT_E1_NS1_11comp_targetILNS1_3genE8ELNS1_11target_archE1030ELNS1_3gpuE2ELNS1_3repE0EEENS1_30default_config_static_selectorELNS0_4arch9wavefront6targetE1EEEvSF_
; %bb.0:
	.section	.rodata,"a",@progbits
	.p2align	6, 0x0
	.amdhsa_kernel _ZN7rocprim17ROCPRIM_400000_NS6detail17trampoline_kernelINS0_14default_configENS1_22reduce_config_selectorIfEEZNS1_11reduce_implILb1ES3_PfS7_fN6thrust23THRUST_200600_302600_NS4plusIfEEEE10hipError_tPvRmT1_T2_T3_mT4_P12ihipStream_tbEUlT_E1_NS1_11comp_targetILNS1_3genE8ELNS1_11target_archE1030ELNS1_3gpuE2ELNS1_3repE0EEENS1_30default_config_static_selectorELNS0_4arch9wavefront6targetE1EEEvSF_
		.amdhsa_group_segment_fixed_size 0
		.amdhsa_private_segment_fixed_size 0
		.amdhsa_kernarg_size 40
		.amdhsa_user_sgpr_count 6
		.amdhsa_user_sgpr_private_segment_buffer 1
		.amdhsa_user_sgpr_dispatch_ptr 0
		.amdhsa_user_sgpr_queue_ptr 0
		.amdhsa_user_sgpr_kernarg_segment_ptr 1
		.amdhsa_user_sgpr_dispatch_id 0
		.amdhsa_user_sgpr_flat_scratch_init 0
		.amdhsa_user_sgpr_private_segment_size 0
		.amdhsa_uses_dynamic_stack 0
		.amdhsa_system_sgpr_private_segment_wavefront_offset 0
		.amdhsa_system_sgpr_workgroup_id_x 1
		.amdhsa_system_sgpr_workgroup_id_y 0
		.amdhsa_system_sgpr_workgroup_id_z 0
		.amdhsa_system_sgpr_workgroup_info 0
		.amdhsa_system_vgpr_workitem_id 0
		.amdhsa_next_free_vgpr 1
		.amdhsa_next_free_sgpr 0
		.amdhsa_reserve_vcc 0
		.amdhsa_reserve_flat_scratch 0
		.amdhsa_float_round_mode_32 0
		.amdhsa_float_round_mode_16_64 0
		.amdhsa_float_denorm_mode_32 3
		.amdhsa_float_denorm_mode_16_64 3
		.amdhsa_dx10_clamp 1
		.amdhsa_ieee_mode 1
		.amdhsa_fp16_overflow 0
		.amdhsa_exception_fp_ieee_invalid_op 0
		.amdhsa_exception_fp_denorm_src 0
		.amdhsa_exception_fp_ieee_div_zero 0
		.amdhsa_exception_fp_ieee_overflow 0
		.amdhsa_exception_fp_ieee_underflow 0
		.amdhsa_exception_fp_ieee_inexact 0
		.amdhsa_exception_int_div_zero 0
	.end_amdhsa_kernel
	.section	.text._ZN7rocprim17ROCPRIM_400000_NS6detail17trampoline_kernelINS0_14default_configENS1_22reduce_config_selectorIfEEZNS1_11reduce_implILb1ES3_PfS7_fN6thrust23THRUST_200600_302600_NS4plusIfEEEE10hipError_tPvRmT1_T2_T3_mT4_P12ihipStream_tbEUlT_E1_NS1_11comp_targetILNS1_3genE8ELNS1_11target_archE1030ELNS1_3gpuE2ELNS1_3repE0EEENS1_30default_config_static_selectorELNS0_4arch9wavefront6targetE1EEEvSF_,"axG",@progbits,_ZN7rocprim17ROCPRIM_400000_NS6detail17trampoline_kernelINS0_14default_configENS1_22reduce_config_selectorIfEEZNS1_11reduce_implILb1ES3_PfS7_fN6thrust23THRUST_200600_302600_NS4plusIfEEEE10hipError_tPvRmT1_T2_T3_mT4_P12ihipStream_tbEUlT_E1_NS1_11comp_targetILNS1_3genE8ELNS1_11target_archE1030ELNS1_3gpuE2ELNS1_3repE0EEENS1_30default_config_static_selectorELNS0_4arch9wavefront6targetE1EEEvSF_,comdat
.Lfunc_end17:
	.size	_ZN7rocprim17ROCPRIM_400000_NS6detail17trampoline_kernelINS0_14default_configENS1_22reduce_config_selectorIfEEZNS1_11reduce_implILb1ES3_PfS7_fN6thrust23THRUST_200600_302600_NS4plusIfEEEE10hipError_tPvRmT1_T2_T3_mT4_P12ihipStream_tbEUlT_E1_NS1_11comp_targetILNS1_3genE8ELNS1_11target_archE1030ELNS1_3gpuE2ELNS1_3repE0EEENS1_30default_config_static_selectorELNS0_4arch9wavefront6targetE1EEEvSF_, .Lfunc_end17-_ZN7rocprim17ROCPRIM_400000_NS6detail17trampoline_kernelINS0_14default_configENS1_22reduce_config_selectorIfEEZNS1_11reduce_implILb1ES3_PfS7_fN6thrust23THRUST_200600_302600_NS4plusIfEEEE10hipError_tPvRmT1_T2_T3_mT4_P12ihipStream_tbEUlT_E1_NS1_11comp_targetILNS1_3genE8ELNS1_11target_archE1030ELNS1_3gpuE2ELNS1_3repE0EEENS1_30default_config_static_selectorELNS0_4arch9wavefront6targetE1EEEvSF_
                                        ; -- End function
	.set _ZN7rocprim17ROCPRIM_400000_NS6detail17trampoline_kernelINS0_14default_configENS1_22reduce_config_selectorIfEEZNS1_11reduce_implILb1ES3_PfS7_fN6thrust23THRUST_200600_302600_NS4plusIfEEEE10hipError_tPvRmT1_T2_T3_mT4_P12ihipStream_tbEUlT_E1_NS1_11comp_targetILNS1_3genE8ELNS1_11target_archE1030ELNS1_3gpuE2ELNS1_3repE0EEENS1_30default_config_static_selectorELNS0_4arch9wavefront6targetE1EEEvSF_.num_vgpr, 0
	.set _ZN7rocprim17ROCPRIM_400000_NS6detail17trampoline_kernelINS0_14default_configENS1_22reduce_config_selectorIfEEZNS1_11reduce_implILb1ES3_PfS7_fN6thrust23THRUST_200600_302600_NS4plusIfEEEE10hipError_tPvRmT1_T2_T3_mT4_P12ihipStream_tbEUlT_E1_NS1_11comp_targetILNS1_3genE8ELNS1_11target_archE1030ELNS1_3gpuE2ELNS1_3repE0EEENS1_30default_config_static_selectorELNS0_4arch9wavefront6targetE1EEEvSF_.num_agpr, 0
	.set _ZN7rocprim17ROCPRIM_400000_NS6detail17trampoline_kernelINS0_14default_configENS1_22reduce_config_selectorIfEEZNS1_11reduce_implILb1ES3_PfS7_fN6thrust23THRUST_200600_302600_NS4plusIfEEEE10hipError_tPvRmT1_T2_T3_mT4_P12ihipStream_tbEUlT_E1_NS1_11comp_targetILNS1_3genE8ELNS1_11target_archE1030ELNS1_3gpuE2ELNS1_3repE0EEENS1_30default_config_static_selectorELNS0_4arch9wavefront6targetE1EEEvSF_.numbered_sgpr, 0
	.set _ZN7rocprim17ROCPRIM_400000_NS6detail17trampoline_kernelINS0_14default_configENS1_22reduce_config_selectorIfEEZNS1_11reduce_implILb1ES3_PfS7_fN6thrust23THRUST_200600_302600_NS4plusIfEEEE10hipError_tPvRmT1_T2_T3_mT4_P12ihipStream_tbEUlT_E1_NS1_11comp_targetILNS1_3genE8ELNS1_11target_archE1030ELNS1_3gpuE2ELNS1_3repE0EEENS1_30default_config_static_selectorELNS0_4arch9wavefront6targetE1EEEvSF_.num_named_barrier, 0
	.set _ZN7rocprim17ROCPRIM_400000_NS6detail17trampoline_kernelINS0_14default_configENS1_22reduce_config_selectorIfEEZNS1_11reduce_implILb1ES3_PfS7_fN6thrust23THRUST_200600_302600_NS4plusIfEEEE10hipError_tPvRmT1_T2_T3_mT4_P12ihipStream_tbEUlT_E1_NS1_11comp_targetILNS1_3genE8ELNS1_11target_archE1030ELNS1_3gpuE2ELNS1_3repE0EEENS1_30default_config_static_selectorELNS0_4arch9wavefront6targetE1EEEvSF_.private_seg_size, 0
	.set _ZN7rocprim17ROCPRIM_400000_NS6detail17trampoline_kernelINS0_14default_configENS1_22reduce_config_selectorIfEEZNS1_11reduce_implILb1ES3_PfS7_fN6thrust23THRUST_200600_302600_NS4plusIfEEEE10hipError_tPvRmT1_T2_T3_mT4_P12ihipStream_tbEUlT_E1_NS1_11comp_targetILNS1_3genE8ELNS1_11target_archE1030ELNS1_3gpuE2ELNS1_3repE0EEENS1_30default_config_static_selectorELNS0_4arch9wavefront6targetE1EEEvSF_.uses_vcc, 0
	.set _ZN7rocprim17ROCPRIM_400000_NS6detail17trampoline_kernelINS0_14default_configENS1_22reduce_config_selectorIfEEZNS1_11reduce_implILb1ES3_PfS7_fN6thrust23THRUST_200600_302600_NS4plusIfEEEE10hipError_tPvRmT1_T2_T3_mT4_P12ihipStream_tbEUlT_E1_NS1_11comp_targetILNS1_3genE8ELNS1_11target_archE1030ELNS1_3gpuE2ELNS1_3repE0EEENS1_30default_config_static_selectorELNS0_4arch9wavefront6targetE1EEEvSF_.uses_flat_scratch, 0
	.set _ZN7rocprim17ROCPRIM_400000_NS6detail17trampoline_kernelINS0_14default_configENS1_22reduce_config_selectorIfEEZNS1_11reduce_implILb1ES3_PfS7_fN6thrust23THRUST_200600_302600_NS4plusIfEEEE10hipError_tPvRmT1_T2_T3_mT4_P12ihipStream_tbEUlT_E1_NS1_11comp_targetILNS1_3genE8ELNS1_11target_archE1030ELNS1_3gpuE2ELNS1_3repE0EEENS1_30default_config_static_selectorELNS0_4arch9wavefront6targetE1EEEvSF_.has_dyn_sized_stack, 0
	.set _ZN7rocprim17ROCPRIM_400000_NS6detail17trampoline_kernelINS0_14default_configENS1_22reduce_config_selectorIfEEZNS1_11reduce_implILb1ES3_PfS7_fN6thrust23THRUST_200600_302600_NS4plusIfEEEE10hipError_tPvRmT1_T2_T3_mT4_P12ihipStream_tbEUlT_E1_NS1_11comp_targetILNS1_3genE8ELNS1_11target_archE1030ELNS1_3gpuE2ELNS1_3repE0EEENS1_30default_config_static_selectorELNS0_4arch9wavefront6targetE1EEEvSF_.has_recursion, 0
	.set _ZN7rocprim17ROCPRIM_400000_NS6detail17trampoline_kernelINS0_14default_configENS1_22reduce_config_selectorIfEEZNS1_11reduce_implILb1ES3_PfS7_fN6thrust23THRUST_200600_302600_NS4plusIfEEEE10hipError_tPvRmT1_T2_T3_mT4_P12ihipStream_tbEUlT_E1_NS1_11comp_targetILNS1_3genE8ELNS1_11target_archE1030ELNS1_3gpuE2ELNS1_3repE0EEENS1_30default_config_static_selectorELNS0_4arch9wavefront6targetE1EEEvSF_.has_indirect_call, 0
	.section	.AMDGPU.csdata,"",@progbits
; Kernel info:
; codeLenInByte = 0
; TotalNumSgprs: 4
; NumVgprs: 0
; ScratchSize: 0
; MemoryBound: 0
; FloatMode: 240
; IeeeMode: 1
; LDSByteSize: 0 bytes/workgroup (compile time only)
; SGPRBlocks: 0
; VGPRBlocks: 0
; NumSGPRsForWavesPerEU: 4
; NumVGPRsForWavesPerEU: 1
; Occupancy: 10
; WaveLimiterHint : 0
; COMPUTE_PGM_RSRC2:SCRATCH_EN: 0
; COMPUTE_PGM_RSRC2:USER_SGPR: 6
; COMPUTE_PGM_RSRC2:TRAP_HANDLER: 0
; COMPUTE_PGM_RSRC2:TGID_X_EN: 1
; COMPUTE_PGM_RSRC2:TGID_Y_EN: 0
; COMPUTE_PGM_RSRC2:TGID_Z_EN: 0
; COMPUTE_PGM_RSRC2:TIDIG_COMP_CNT: 0
	.section	.text._ZN7rocprim17ROCPRIM_400000_NS6detail17trampoline_kernelINS0_14default_configENS1_22reduce_config_selectorIfEEZNS1_11reduce_implILb1ES3_N6thrust23THRUST_200600_302600_NS11hip_rocprim26transform_input_iterator_tIfNS8_17counting_iteratorIiNS8_11use_defaultESC_SC_EE11estimate_piEEPffNS8_4plusIfEEEE10hipError_tPvRmT1_T2_T3_mT4_P12ihipStream_tbEUlT_E0_NS1_11comp_targetILNS1_3genE0ELNS1_11target_archE4294967295ELNS1_3gpuE0ELNS1_3repE0EEENS1_30default_config_static_selectorELNS0_4arch9wavefront6targetE1EEEvSM_,"axG",@progbits,_ZN7rocprim17ROCPRIM_400000_NS6detail17trampoline_kernelINS0_14default_configENS1_22reduce_config_selectorIfEEZNS1_11reduce_implILb1ES3_N6thrust23THRUST_200600_302600_NS11hip_rocprim26transform_input_iterator_tIfNS8_17counting_iteratorIiNS8_11use_defaultESC_SC_EE11estimate_piEEPffNS8_4plusIfEEEE10hipError_tPvRmT1_T2_T3_mT4_P12ihipStream_tbEUlT_E0_NS1_11comp_targetILNS1_3genE0ELNS1_11target_archE4294967295ELNS1_3gpuE0ELNS1_3repE0EEENS1_30default_config_static_selectorELNS0_4arch9wavefront6targetE1EEEvSM_,comdat
	.protected	_ZN7rocprim17ROCPRIM_400000_NS6detail17trampoline_kernelINS0_14default_configENS1_22reduce_config_selectorIfEEZNS1_11reduce_implILb1ES3_N6thrust23THRUST_200600_302600_NS11hip_rocprim26transform_input_iterator_tIfNS8_17counting_iteratorIiNS8_11use_defaultESC_SC_EE11estimate_piEEPffNS8_4plusIfEEEE10hipError_tPvRmT1_T2_T3_mT4_P12ihipStream_tbEUlT_E0_NS1_11comp_targetILNS1_3genE0ELNS1_11target_archE4294967295ELNS1_3gpuE0ELNS1_3repE0EEENS1_30default_config_static_selectorELNS0_4arch9wavefront6targetE1EEEvSM_ ; -- Begin function _ZN7rocprim17ROCPRIM_400000_NS6detail17trampoline_kernelINS0_14default_configENS1_22reduce_config_selectorIfEEZNS1_11reduce_implILb1ES3_N6thrust23THRUST_200600_302600_NS11hip_rocprim26transform_input_iterator_tIfNS8_17counting_iteratorIiNS8_11use_defaultESC_SC_EE11estimate_piEEPffNS8_4plusIfEEEE10hipError_tPvRmT1_T2_T3_mT4_P12ihipStream_tbEUlT_E0_NS1_11comp_targetILNS1_3genE0ELNS1_11target_archE4294967295ELNS1_3gpuE0ELNS1_3repE0EEENS1_30default_config_static_selectorELNS0_4arch9wavefront6targetE1EEEvSM_
	.globl	_ZN7rocprim17ROCPRIM_400000_NS6detail17trampoline_kernelINS0_14default_configENS1_22reduce_config_selectorIfEEZNS1_11reduce_implILb1ES3_N6thrust23THRUST_200600_302600_NS11hip_rocprim26transform_input_iterator_tIfNS8_17counting_iteratorIiNS8_11use_defaultESC_SC_EE11estimate_piEEPffNS8_4plusIfEEEE10hipError_tPvRmT1_T2_T3_mT4_P12ihipStream_tbEUlT_E0_NS1_11comp_targetILNS1_3genE0ELNS1_11target_archE4294967295ELNS1_3gpuE0ELNS1_3repE0EEENS1_30default_config_static_selectorELNS0_4arch9wavefront6targetE1EEEvSM_
	.p2align	8
	.type	_ZN7rocprim17ROCPRIM_400000_NS6detail17trampoline_kernelINS0_14default_configENS1_22reduce_config_selectorIfEEZNS1_11reduce_implILb1ES3_N6thrust23THRUST_200600_302600_NS11hip_rocprim26transform_input_iterator_tIfNS8_17counting_iteratorIiNS8_11use_defaultESC_SC_EE11estimate_piEEPffNS8_4plusIfEEEE10hipError_tPvRmT1_T2_T3_mT4_P12ihipStream_tbEUlT_E0_NS1_11comp_targetILNS1_3genE0ELNS1_11target_archE4294967295ELNS1_3gpuE0ELNS1_3repE0EEENS1_30default_config_static_selectorELNS0_4arch9wavefront6targetE1EEEvSM_,@function
_ZN7rocprim17ROCPRIM_400000_NS6detail17trampoline_kernelINS0_14default_configENS1_22reduce_config_selectorIfEEZNS1_11reduce_implILb1ES3_N6thrust23THRUST_200600_302600_NS11hip_rocprim26transform_input_iterator_tIfNS8_17counting_iteratorIiNS8_11use_defaultESC_SC_EE11estimate_piEEPffNS8_4plusIfEEEE10hipError_tPvRmT1_T2_T3_mT4_P12ihipStream_tbEUlT_E0_NS1_11comp_targetILNS1_3genE0ELNS1_11target_archE4294967295ELNS1_3gpuE0ELNS1_3repE0EEENS1_30default_config_static_selectorELNS0_4arch9wavefront6targetE1EEEvSM_: ; @_ZN7rocprim17ROCPRIM_400000_NS6detail17trampoline_kernelINS0_14default_configENS1_22reduce_config_selectorIfEEZNS1_11reduce_implILb1ES3_N6thrust23THRUST_200600_302600_NS11hip_rocprim26transform_input_iterator_tIfNS8_17counting_iteratorIiNS8_11use_defaultESC_SC_EE11estimate_piEEPffNS8_4plusIfEEEE10hipError_tPvRmT1_T2_T3_mT4_P12ihipStream_tbEUlT_E0_NS1_11comp_targetILNS1_3genE0ELNS1_11target_archE4294967295ELNS1_3gpuE0ELNS1_3repE0EEENS1_30default_config_static_selectorELNS0_4arch9wavefront6targetE1EEEvSM_
; %bb.0:
	.section	.rodata,"a",@progbits
	.p2align	6, 0x0
	.amdhsa_kernel _ZN7rocprim17ROCPRIM_400000_NS6detail17trampoline_kernelINS0_14default_configENS1_22reduce_config_selectorIfEEZNS1_11reduce_implILb1ES3_N6thrust23THRUST_200600_302600_NS11hip_rocprim26transform_input_iterator_tIfNS8_17counting_iteratorIiNS8_11use_defaultESC_SC_EE11estimate_piEEPffNS8_4plusIfEEEE10hipError_tPvRmT1_T2_T3_mT4_P12ihipStream_tbEUlT_E0_NS1_11comp_targetILNS1_3genE0ELNS1_11target_archE4294967295ELNS1_3gpuE0ELNS1_3repE0EEENS1_30default_config_static_selectorELNS0_4arch9wavefront6targetE1EEEvSM_
		.amdhsa_group_segment_fixed_size 0
		.amdhsa_private_segment_fixed_size 0
		.amdhsa_kernarg_size 56
		.amdhsa_user_sgpr_count 6
		.amdhsa_user_sgpr_private_segment_buffer 1
		.amdhsa_user_sgpr_dispatch_ptr 0
		.amdhsa_user_sgpr_queue_ptr 0
		.amdhsa_user_sgpr_kernarg_segment_ptr 1
		.amdhsa_user_sgpr_dispatch_id 0
		.amdhsa_user_sgpr_flat_scratch_init 0
		.amdhsa_user_sgpr_private_segment_size 0
		.amdhsa_uses_dynamic_stack 0
		.amdhsa_system_sgpr_private_segment_wavefront_offset 0
		.amdhsa_system_sgpr_workgroup_id_x 1
		.amdhsa_system_sgpr_workgroup_id_y 0
		.amdhsa_system_sgpr_workgroup_id_z 0
		.amdhsa_system_sgpr_workgroup_info 0
		.amdhsa_system_vgpr_workitem_id 0
		.amdhsa_next_free_vgpr 1
		.amdhsa_next_free_sgpr 0
		.amdhsa_reserve_vcc 0
		.amdhsa_reserve_flat_scratch 0
		.amdhsa_float_round_mode_32 0
		.amdhsa_float_round_mode_16_64 0
		.amdhsa_float_denorm_mode_32 3
		.amdhsa_float_denorm_mode_16_64 3
		.amdhsa_dx10_clamp 1
		.amdhsa_ieee_mode 1
		.amdhsa_fp16_overflow 0
		.amdhsa_exception_fp_ieee_invalid_op 0
		.amdhsa_exception_fp_denorm_src 0
		.amdhsa_exception_fp_ieee_div_zero 0
		.amdhsa_exception_fp_ieee_overflow 0
		.amdhsa_exception_fp_ieee_underflow 0
		.amdhsa_exception_fp_ieee_inexact 0
		.amdhsa_exception_int_div_zero 0
	.end_amdhsa_kernel
	.section	.text._ZN7rocprim17ROCPRIM_400000_NS6detail17trampoline_kernelINS0_14default_configENS1_22reduce_config_selectorIfEEZNS1_11reduce_implILb1ES3_N6thrust23THRUST_200600_302600_NS11hip_rocprim26transform_input_iterator_tIfNS8_17counting_iteratorIiNS8_11use_defaultESC_SC_EE11estimate_piEEPffNS8_4plusIfEEEE10hipError_tPvRmT1_T2_T3_mT4_P12ihipStream_tbEUlT_E0_NS1_11comp_targetILNS1_3genE0ELNS1_11target_archE4294967295ELNS1_3gpuE0ELNS1_3repE0EEENS1_30default_config_static_selectorELNS0_4arch9wavefront6targetE1EEEvSM_,"axG",@progbits,_ZN7rocprim17ROCPRIM_400000_NS6detail17trampoline_kernelINS0_14default_configENS1_22reduce_config_selectorIfEEZNS1_11reduce_implILb1ES3_N6thrust23THRUST_200600_302600_NS11hip_rocprim26transform_input_iterator_tIfNS8_17counting_iteratorIiNS8_11use_defaultESC_SC_EE11estimate_piEEPffNS8_4plusIfEEEE10hipError_tPvRmT1_T2_T3_mT4_P12ihipStream_tbEUlT_E0_NS1_11comp_targetILNS1_3genE0ELNS1_11target_archE4294967295ELNS1_3gpuE0ELNS1_3repE0EEENS1_30default_config_static_selectorELNS0_4arch9wavefront6targetE1EEEvSM_,comdat
.Lfunc_end18:
	.size	_ZN7rocprim17ROCPRIM_400000_NS6detail17trampoline_kernelINS0_14default_configENS1_22reduce_config_selectorIfEEZNS1_11reduce_implILb1ES3_N6thrust23THRUST_200600_302600_NS11hip_rocprim26transform_input_iterator_tIfNS8_17counting_iteratorIiNS8_11use_defaultESC_SC_EE11estimate_piEEPffNS8_4plusIfEEEE10hipError_tPvRmT1_T2_T3_mT4_P12ihipStream_tbEUlT_E0_NS1_11comp_targetILNS1_3genE0ELNS1_11target_archE4294967295ELNS1_3gpuE0ELNS1_3repE0EEENS1_30default_config_static_selectorELNS0_4arch9wavefront6targetE1EEEvSM_, .Lfunc_end18-_ZN7rocprim17ROCPRIM_400000_NS6detail17trampoline_kernelINS0_14default_configENS1_22reduce_config_selectorIfEEZNS1_11reduce_implILb1ES3_N6thrust23THRUST_200600_302600_NS11hip_rocprim26transform_input_iterator_tIfNS8_17counting_iteratorIiNS8_11use_defaultESC_SC_EE11estimate_piEEPffNS8_4plusIfEEEE10hipError_tPvRmT1_T2_T3_mT4_P12ihipStream_tbEUlT_E0_NS1_11comp_targetILNS1_3genE0ELNS1_11target_archE4294967295ELNS1_3gpuE0ELNS1_3repE0EEENS1_30default_config_static_selectorELNS0_4arch9wavefront6targetE1EEEvSM_
                                        ; -- End function
	.set _ZN7rocprim17ROCPRIM_400000_NS6detail17trampoline_kernelINS0_14default_configENS1_22reduce_config_selectorIfEEZNS1_11reduce_implILb1ES3_N6thrust23THRUST_200600_302600_NS11hip_rocprim26transform_input_iterator_tIfNS8_17counting_iteratorIiNS8_11use_defaultESC_SC_EE11estimate_piEEPffNS8_4plusIfEEEE10hipError_tPvRmT1_T2_T3_mT4_P12ihipStream_tbEUlT_E0_NS1_11comp_targetILNS1_3genE0ELNS1_11target_archE4294967295ELNS1_3gpuE0ELNS1_3repE0EEENS1_30default_config_static_selectorELNS0_4arch9wavefront6targetE1EEEvSM_.num_vgpr, 0
	.set _ZN7rocprim17ROCPRIM_400000_NS6detail17trampoline_kernelINS0_14default_configENS1_22reduce_config_selectorIfEEZNS1_11reduce_implILb1ES3_N6thrust23THRUST_200600_302600_NS11hip_rocprim26transform_input_iterator_tIfNS8_17counting_iteratorIiNS8_11use_defaultESC_SC_EE11estimate_piEEPffNS8_4plusIfEEEE10hipError_tPvRmT1_T2_T3_mT4_P12ihipStream_tbEUlT_E0_NS1_11comp_targetILNS1_3genE0ELNS1_11target_archE4294967295ELNS1_3gpuE0ELNS1_3repE0EEENS1_30default_config_static_selectorELNS0_4arch9wavefront6targetE1EEEvSM_.num_agpr, 0
	.set _ZN7rocprim17ROCPRIM_400000_NS6detail17trampoline_kernelINS0_14default_configENS1_22reduce_config_selectorIfEEZNS1_11reduce_implILb1ES3_N6thrust23THRUST_200600_302600_NS11hip_rocprim26transform_input_iterator_tIfNS8_17counting_iteratorIiNS8_11use_defaultESC_SC_EE11estimate_piEEPffNS8_4plusIfEEEE10hipError_tPvRmT1_T2_T3_mT4_P12ihipStream_tbEUlT_E0_NS1_11comp_targetILNS1_3genE0ELNS1_11target_archE4294967295ELNS1_3gpuE0ELNS1_3repE0EEENS1_30default_config_static_selectorELNS0_4arch9wavefront6targetE1EEEvSM_.numbered_sgpr, 0
	.set _ZN7rocprim17ROCPRIM_400000_NS6detail17trampoline_kernelINS0_14default_configENS1_22reduce_config_selectorIfEEZNS1_11reduce_implILb1ES3_N6thrust23THRUST_200600_302600_NS11hip_rocprim26transform_input_iterator_tIfNS8_17counting_iteratorIiNS8_11use_defaultESC_SC_EE11estimate_piEEPffNS8_4plusIfEEEE10hipError_tPvRmT1_T2_T3_mT4_P12ihipStream_tbEUlT_E0_NS1_11comp_targetILNS1_3genE0ELNS1_11target_archE4294967295ELNS1_3gpuE0ELNS1_3repE0EEENS1_30default_config_static_selectorELNS0_4arch9wavefront6targetE1EEEvSM_.num_named_barrier, 0
	.set _ZN7rocprim17ROCPRIM_400000_NS6detail17trampoline_kernelINS0_14default_configENS1_22reduce_config_selectorIfEEZNS1_11reduce_implILb1ES3_N6thrust23THRUST_200600_302600_NS11hip_rocprim26transform_input_iterator_tIfNS8_17counting_iteratorIiNS8_11use_defaultESC_SC_EE11estimate_piEEPffNS8_4plusIfEEEE10hipError_tPvRmT1_T2_T3_mT4_P12ihipStream_tbEUlT_E0_NS1_11comp_targetILNS1_3genE0ELNS1_11target_archE4294967295ELNS1_3gpuE0ELNS1_3repE0EEENS1_30default_config_static_selectorELNS0_4arch9wavefront6targetE1EEEvSM_.private_seg_size, 0
	.set _ZN7rocprim17ROCPRIM_400000_NS6detail17trampoline_kernelINS0_14default_configENS1_22reduce_config_selectorIfEEZNS1_11reduce_implILb1ES3_N6thrust23THRUST_200600_302600_NS11hip_rocprim26transform_input_iterator_tIfNS8_17counting_iteratorIiNS8_11use_defaultESC_SC_EE11estimate_piEEPffNS8_4plusIfEEEE10hipError_tPvRmT1_T2_T3_mT4_P12ihipStream_tbEUlT_E0_NS1_11comp_targetILNS1_3genE0ELNS1_11target_archE4294967295ELNS1_3gpuE0ELNS1_3repE0EEENS1_30default_config_static_selectorELNS0_4arch9wavefront6targetE1EEEvSM_.uses_vcc, 0
	.set _ZN7rocprim17ROCPRIM_400000_NS6detail17trampoline_kernelINS0_14default_configENS1_22reduce_config_selectorIfEEZNS1_11reduce_implILb1ES3_N6thrust23THRUST_200600_302600_NS11hip_rocprim26transform_input_iterator_tIfNS8_17counting_iteratorIiNS8_11use_defaultESC_SC_EE11estimate_piEEPffNS8_4plusIfEEEE10hipError_tPvRmT1_T2_T3_mT4_P12ihipStream_tbEUlT_E0_NS1_11comp_targetILNS1_3genE0ELNS1_11target_archE4294967295ELNS1_3gpuE0ELNS1_3repE0EEENS1_30default_config_static_selectorELNS0_4arch9wavefront6targetE1EEEvSM_.uses_flat_scratch, 0
	.set _ZN7rocprim17ROCPRIM_400000_NS6detail17trampoline_kernelINS0_14default_configENS1_22reduce_config_selectorIfEEZNS1_11reduce_implILb1ES3_N6thrust23THRUST_200600_302600_NS11hip_rocprim26transform_input_iterator_tIfNS8_17counting_iteratorIiNS8_11use_defaultESC_SC_EE11estimate_piEEPffNS8_4plusIfEEEE10hipError_tPvRmT1_T2_T3_mT4_P12ihipStream_tbEUlT_E0_NS1_11comp_targetILNS1_3genE0ELNS1_11target_archE4294967295ELNS1_3gpuE0ELNS1_3repE0EEENS1_30default_config_static_selectorELNS0_4arch9wavefront6targetE1EEEvSM_.has_dyn_sized_stack, 0
	.set _ZN7rocprim17ROCPRIM_400000_NS6detail17trampoline_kernelINS0_14default_configENS1_22reduce_config_selectorIfEEZNS1_11reduce_implILb1ES3_N6thrust23THRUST_200600_302600_NS11hip_rocprim26transform_input_iterator_tIfNS8_17counting_iteratorIiNS8_11use_defaultESC_SC_EE11estimate_piEEPffNS8_4plusIfEEEE10hipError_tPvRmT1_T2_T3_mT4_P12ihipStream_tbEUlT_E0_NS1_11comp_targetILNS1_3genE0ELNS1_11target_archE4294967295ELNS1_3gpuE0ELNS1_3repE0EEENS1_30default_config_static_selectorELNS0_4arch9wavefront6targetE1EEEvSM_.has_recursion, 0
	.set _ZN7rocprim17ROCPRIM_400000_NS6detail17trampoline_kernelINS0_14default_configENS1_22reduce_config_selectorIfEEZNS1_11reduce_implILb1ES3_N6thrust23THRUST_200600_302600_NS11hip_rocprim26transform_input_iterator_tIfNS8_17counting_iteratorIiNS8_11use_defaultESC_SC_EE11estimate_piEEPffNS8_4plusIfEEEE10hipError_tPvRmT1_T2_T3_mT4_P12ihipStream_tbEUlT_E0_NS1_11comp_targetILNS1_3genE0ELNS1_11target_archE4294967295ELNS1_3gpuE0ELNS1_3repE0EEENS1_30default_config_static_selectorELNS0_4arch9wavefront6targetE1EEEvSM_.has_indirect_call, 0
	.section	.AMDGPU.csdata,"",@progbits
; Kernel info:
; codeLenInByte = 0
; TotalNumSgprs: 4
; NumVgprs: 0
; ScratchSize: 0
; MemoryBound: 0
; FloatMode: 240
; IeeeMode: 1
; LDSByteSize: 0 bytes/workgroup (compile time only)
; SGPRBlocks: 0
; VGPRBlocks: 0
; NumSGPRsForWavesPerEU: 4
; NumVGPRsForWavesPerEU: 1
; Occupancy: 10
; WaveLimiterHint : 0
; COMPUTE_PGM_RSRC2:SCRATCH_EN: 0
; COMPUTE_PGM_RSRC2:USER_SGPR: 6
; COMPUTE_PGM_RSRC2:TRAP_HANDLER: 0
; COMPUTE_PGM_RSRC2:TGID_X_EN: 1
; COMPUTE_PGM_RSRC2:TGID_Y_EN: 0
; COMPUTE_PGM_RSRC2:TGID_Z_EN: 0
; COMPUTE_PGM_RSRC2:TIDIG_COMP_CNT: 0
	.section	.text._ZN7rocprim17ROCPRIM_400000_NS6detail17trampoline_kernelINS0_14default_configENS1_22reduce_config_selectorIfEEZNS1_11reduce_implILb1ES3_N6thrust23THRUST_200600_302600_NS11hip_rocprim26transform_input_iterator_tIfNS8_17counting_iteratorIiNS8_11use_defaultESC_SC_EE11estimate_piEEPffNS8_4plusIfEEEE10hipError_tPvRmT1_T2_T3_mT4_P12ihipStream_tbEUlT_E0_NS1_11comp_targetILNS1_3genE5ELNS1_11target_archE942ELNS1_3gpuE9ELNS1_3repE0EEENS1_30default_config_static_selectorELNS0_4arch9wavefront6targetE1EEEvSM_,"axG",@progbits,_ZN7rocprim17ROCPRIM_400000_NS6detail17trampoline_kernelINS0_14default_configENS1_22reduce_config_selectorIfEEZNS1_11reduce_implILb1ES3_N6thrust23THRUST_200600_302600_NS11hip_rocprim26transform_input_iterator_tIfNS8_17counting_iteratorIiNS8_11use_defaultESC_SC_EE11estimate_piEEPffNS8_4plusIfEEEE10hipError_tPvRmT1_T2_T3_mT4_P12ihipStream_tbEUlT_E0_NS1_11comp_targetILNS1_3genE5ELNS1_11target_archE942ELNS1_3gpuE9ELNS1_3repE0EEENS1_30default_config_static_selectorELNS0_4arch9wavefront6targetE1EEEvSM_,comdat
	.protected	_ZN7rocprim17ROCPRIM_400000_NS6detail17trampoline_kernelINS0_14default_configENS1_22reduce_config_selectorIfEEZNS1_11reduce_implILb1ES3_N6thrust23THRUST_200600_302600_NS11hip_rocprim26transform_input_iterator_tIfNS8_17counting_iteratorIiNS8_11use_defaultESC_SC_EE11estimate_piEEPffNS8_4plusIfEEEE10hipError_tPvRmT1_T2_T3_mT4_P12ihipStream_tbEUlT_E0_NS1_11comp_targetILNS1_3genE5ELNS1_11target_archE942ELNS1_3gpuE9ELNS1_3repE0EEENS1_30default_config_static_selectorELNS0_4arch9wavefront6targetE1EEEvSM_ ; -- Begin function _ZN7rocprim17ROCPRIM_400000_NS6detail17trampoline_kernelINS0_14default_configENS1_22reduce_config_selectorIfEEZNS1_11reduce_implILb1ES3_N6thrust23THRUST_200600_302600_NS11hip_rocprim26transform_input_iterator_tIfNS8_17counting_iteratorIiNS8_11use_defaultESC_SC_EE11estimate_piEEPffNS8_4plusIfEEEE10hipError_tPvRmT1_T2_T3_mT4_P12ihipStream_tbEUlT_E0_NS1_11comp_targetILNS1_3genE5ELNS1_11target_archE942ELNS1_3gpuE9ELNS1_3repE0EEENS1_30default_config_static_selectorELNS0_4arch9wavefront6targetE1EEEvSM_
	.globl	_ZN7rocprim17ROCPRIM_400000_NS6detail17trampoline_kernelINS0_14default_configENS1_22reduce_config_selectorIfEEZNS1_11reduce_implILb1ES3_N6thrust23THRUST_200600_302600_NS11hip_rocprim26transform_input_iterator_tIfNS8_17counting_iteratorIiNS8_11use_defaultESC_SC_EE11estimate_piEEPffNS8_4plusIfEEEE10hipError_tPvRmT1_T2_T3_mT4_P12ihipStream_tbEUlT_E0_NS1_11comp_targetILNS1_3genE5ELNS1_11target_archE942ELNS1_3gpuE9ELNS1_3repE0EEENS1_30default_config_static_selectorELNS0_4arch9wavefront6targetE1EEEvSM_
	.p2align	8
	.type	_ZN7rocprim17ROCPRIM_400000_NS6detail17trampoline_kernelINS0_14default_configENS1_22reduce_config_selectorIfEEZNS1_11reduce_implILb1ES3_N6thrust23THRUST_200600_302600_NS11hip_rocprim26transform_input_iterator_tIfNS8_17counting_iteratorIiNS8_11use_defaultESC_SC_EE11estimate_piEEPffNS8_4plusIfEEEE10hipError_tPvRmT1_T2_T3_mT4_P12ihipStream_tbEUlT_E0_NS1_11comp_targetILNS1_3genE5ELNS1_11target_archE942ELNS1_3gpuE9ELNS1_3repE0EEENS1_30default_config_static_selectorELNS0_4arch9wavefront6targetE1EEEvSM_,@function
_ZN7rocprim17ROCPRIM_400000_NS6detail17trampoline_kernelINS0_14default_configENS1_22reduce_config_selectorIfEEZNS1_11reduce_implILb1ES3_N6thrust23THRUST_200600_302600_NS11hip_rocprim26transform_input_iterator_tIfNS8_17counting_iteratorIiNS8_11use_defaultESC_SC_EE11estimate_piEEPffNS8_4plusIfEEEE10hipError_tPvRmT1_T2_T3_mT4_P12ihipStream_tbEUlT_E0_NS1_11comp_targetILNS1_3genE5ELNS1_11target_archE942ELNS1_3gpuE9ELNS1_3repE0EEENS1_30default_config_static_selectorELNS0_4arch9wavefront6targetE1EEEvSM_: ; @_ZN7rocprim17ROCPRIM_400000_NS6detail17trampoline_kernelINS0_14default_configENS1_22reduce_config_selectorIfEEZNS1_11reduce_implILb1ES3_N6thrust23THRUST_200600_302600_NS11hip_rocprim26transform_input_iterator_tIfNS8_17counting_iteratorIiNS8_11use_defaultESC_SC_EE11estimate_piEEPffNS8_4plusIfEEEE10hipError_tPvRmT1_T2_T3_mT4_P12ihipStream_tbEUlT_E0_NS1_11comp_targetILNS1_3genE5ELNS1_11target_archE942ELNS1_3gpuE9ELNS1_3repE0EEENS1_30default_config_static_selectorELNS0_4arch9wavefront6targetE1EEEvSM_
; %bb.0:
	.section	.rodata,"a",@progbits
	.p2align	6, 0x0
	.amdhsa_kernel _ZN7rocprim17ROCPRIM_400000_NS6detail17trampoline_kernelINS0_14default_configENS1_22reduce_config_selectorIfEEZNS1_11reduce_implILb1ES3_N6thrust23THRUST_200600_302600_NS11hip_rocprim26transform_input_iterator_tIfNS8_17counting_iteratorIiNS8_11use_defaultESC_SC_EE11estimate_piEEPffNS8_4plusIfEEEE10hipError_tPvRmT1_T2_T3_mT4_P12ihipStream_tbEUlT_E0_NS1_11comp_targetILNS1_3genE5ELNS1_11target_archE942ELNS1_3gpuE9ELNS1_3repE0EEENS1_30default_config_static_selectorELNS0_4arch9wavefront6targetE1EEEvSM_
		.amdhsa_group_segment_fixed_size 0
		.amdhsa_private_segment_fixed_size 0
		.amdhsa_kernarg_size 56
		.amdhsa_user_sgpr_count 6
		.amdhsa_user_sgpr_private_segment_buffer 1
		.amdhsa_user_sgpr_dispatch_ptr 0
		.amdhsa_user_sgpr_queue_ptr 0
		.amdhsa_user_sgpr_kernarg_segment_ptr 1
		.amdhsa_user_sgpr_dispatch_id 0
		.amdhsa_user_sgpr_flat_scratch_init 0
		.amdhsa_user_sgpr_private_segment_size 0
		.amdhsa_uses_dynamic_stack 0
		.amdhsa_system_sgpr_private_segment_wavefront_offset 0
		.amdhsa_system_sgpr_workgroup_id_x 1
		.amdhsa_system_sgpr_workgroup_id_y 0
		.amdhsa_system_sgpr_workgroup_id_z 0
		.amdhsa_system_sgpr_workgroup_info 0
		.amdhsa_system_vgpr_workitem_id 0
		.amdhsa_next_free_vgpr 1
		.amdhsa_next_free_sgpr 0
		.amdhsa_reserve_vcc 0
		.amdhsa_reserve_flat_scratch 0
		.amdhsa_float_round_mode_32 0
		.amdhsa_float_round_mode_16_64 0
		.amdhsa_float_denorm_mode_32 3
		.amdhsa_float_denorm_mode_16_64 3
		.amdhsa_dx10_clamp 1
		.amdhsa_ieee_mode 1
		.amdhsa_fp16_overflow 0
		.amdhsa_exception_fp_ieee_invalid_op 0
		.amdhsa_exception_fp_denorm_src 0
		.amdhsa_exception_fp_ieee_div_zero 0
		.amdhsa_exception_fp_ieee_overflow 0
		.amdhsa_exception_fp_ieee_underflow 0
		.amdhsa_exception_fp_ieee_inexact 0
		.amdhsa_exception_int_div_zero 0
	.end_amdhsa_kernel
	.section	.text._ZN7rocprim17ROCPRIM_400000_NS6detail17trampoline_kernelINS0_14default_configENS1_22reduce_config_selectorIfEEZNS1_11reduce_implILb1ES3_N6thrust23THRUST_200600_302600_NS11hip_rocprim26transform_input_iterator_tIfNS8_17counting_iteratorIiNS8_11use_defaultESC_SC_EE11estimate_piEEPffNS8_4plusIfEEEE10hipError_tPvRmT1_T2_T3_mT4_P12ihipStream_tbEUlT_E0_NS1_11comp_targetILNS1_3genE5ELNS1_11target_archE942ELNS1_3gpuE9ELNS1_3repE0EEENS1_30default_config_static_selectorELNS0_4arch9wavefront6targetE1EEEvSM_,"axG",@progbits,_ZN7rocprim17ROCPRIM_400000_NS6detail17trampoline_kernelINS0_14default_configENS1_22reduce_config_selectorIfEEZNS1_11reduce_implILb1ES3_N6thrust23THRUST_200600_302600_NS11hip_rocprim26transform_input_iterator_tIfNS8_17counting_iteratorIiNS8_11use_defaultESC_SC_EE11estimate_piEEPffNS8_4plusIfEEEE10hipError_tPvRmT1_T2_T3_mT4_P12ihipStream_tbEUlT_E0_NS1_11comp_targetILNS1_3genE5ELNS1_11target_archE942ELNS1_3gpuE9ELNS1_3repE0EEENS1_30default_config_static_selectorELNS0_4arch9wavefront6targetE1EEEvSM_,comdat
.Lfunc_end19:
	.size	_ZN7rocprim17ROCPRIM_400000_NS6detail17trampoline_kernelINS0_14default_configENS1_22reduce_config_selectorIfEEZNS1_11reduce_implILb1ES3_N6thrust23THRUST_200600_302600_NS11hip_rocprim26transform_input_iterator_tIfNS8_17counting_iteratorIiNS8_11use_defaultESC_SC_EE11estimate_piEEPffNS8_4plusIfEEEE10hipError_tPvRmT1_T2_T3_mT4_P12ihipStream_tbEUlT_E0_NS1_11comp_targetILNS1_3genE5ELNS1_11target_archE942ELNS1_3gpuE9ELNS1_3repE0EEENS1_30default_config_static_selectorELNS0_4arch9wavefront6targetE1EEEvSM_, .Lfunc_end19-_ZN7rocprim17ROCPRIM_400000_NS6detail17trampoline_kernelINS0_14default_configENS1_22reduce_config_selectorIfEEZNS1_11reduce_implILb1ES3_N6thrust23THRUST_200600_302600_NS11hip_rocprim26transform_input_iterator_tIfNS8_17counting_iteratorIiNS8_11use_defaultESC_SC_EE11estimate_piEEPffNS8_4plusIfEEEE10hipError_tPvRmT1_T2_T3_mT4_P12ihipStream_tbEUlT_E0_NS1_11comp_targetILNS1_3genE5ELNS1_11target_archE942ELNS1_3gpuE9ELNS1_3repE0EEENS1_30default_config_static_selectorELNS0_4arch9wavefront6targetE1EEEvSM_
                                        ; -- End function
	.set _ZN7rocprim17ROCPRIM_400000_NS6detail17trampoline_kernelINS0_14default_configENS1_22reduce_config_selectorIfEEZNS1_11reduce_implILb1ES3_N6thrust23THRUST_200600_302600_NS11hip_rocprim26transform_input_iterator_tIfNS8_17counting_iteratorIiNS8_11use_defaultESC_SC_EE11estimate_piEEPffNS8_4plusIfEEEE10hipError_tPvRmT1_T2_T3_mT4_P12ihipStream_tbEUlT_E0_NS1_11comp_targetILNS1_3genE5ELNS1_11target_archE942ELNS1_3gpuE9ELNS1_3repE0EEENS1_30default_config_static_selectorELNS0_4arch9wavefront6targetE1EEEvSM_.num_vgpr, 0
	.set _ZN7rocprim17ROCPRIM_400000_NS6detail17trampoline_kernelINS0_14default_configENS1_22reduce_config_selectorIfEEZNS1_11reduce_implILb1ES3_N6thrust23THRUST_200600_302600_NS11hip_rocprim26transform_input_iterator_tIfNS8_17counting_iteratorIiNS8_11use_defaultESC_SC_EE11estimate_piEEPffNS8_4plusIfEEEE10hipError_tPvRmT1_T2_T3_mT4_P12ihipStream_tbEUlT_E0_NS1_11comp_targetILNS1_3genE5ELNS1_11target_archE942ELNS1_3gpuE9ELNS1_3repE0EEENS1_30default_config_static_selectorELNS0_4arch9wavefront6targetE1EEEvSM_.num_agpr, 0
	.set _ZN7rocprim17ROCPRIM_400000_NS6detail17trampoline_kernelINS0_14default_configENS1_22reduce_config_selectorIfEEZNS1_11reduce_implILb1ES3_N6thrust23THRUST_200600_302600_NS11hip_rocprim26transform_input_iterator_tIfNS8_17counting_iteratorIiNS8_11use_defaultESC_SC_EE11estimate_piEEPffNS8_4plusIfEEEE10hipError_tPvRmT1_T2_T3_mT4_P12ihipStream_tbEUlT_E0_NS1_11comp_targetILNS1_3genE5ELNS1_11target_archE942ELNS1_3gpuE9ELNS1_3repE0EEENS1_30default_config_static_selectorELNS0_4arch9wavefront6targetE1EEEvSM_.numbered_sgpr, 0
	.set _ZN7rocprim17ROCPRIM_400000_NS6detail17trampoline_kernelINS0_14default_configENS1_22reduce_config_selectorIfEEZNS1_11reduce_implILb1ES3_N6thrust23THRUST_200600_302600_NS11hip_rocprim26transform_input_iterator_tIfNS8_17counting_iteratorIiNS8_11use_defaultESC_SC_EE11estimate_piEEPffNS8_4plusIfEEEE10hipError_tPvRmT1_T2_T3_mT4_P12ihipStream_tbEUlT_E0_NS1_11comp_targetILNS1_3genE5ELNS1_11target_archE942ELNS1_3gpuE9ELNS1_3repE0EEENS1_30default_config_static_selectorELNS0_4arch9wavefront6targetE1EEEvSM_.num_named_barrier, 0
	.set _ZN7rocprim17ROCPRIM_400000_NS6detail17trampoline_kernelINS0_14default_configENS1_22reduce_config_selectorIfEEZNS1_11reduce_implILb1ES3_N6thrust23THRUST_200600_302600_NS11hip_rocprim26transform_input_iterator_tIfNS8_17counting_iteratorIiNS8_11use_defaultESC_SC_EE11estimate_piEEPffNS8_4plusIfEEEE10hipError_tPvRmT1_T2_T3_mT4_P12ihipStream_tbEUlT_E0_NS1_11comp_targetILNS1_3genE5ELNS1_11target_archE942ELNS1_3gpuE9ELNS1_3repE0EEENS1_30default_config_static_selectorELNS0_4arch9wavefront6targetE1EEEvSM_.private_seg_size, 0
	.set _ZN7rocprim17ROCPRIM_400000_NS6detail17trampoline_kernelINS0_14default_configENS1_22reduce_config_selectorIfEEZNS1_11reduce_implILb1ES3_N6thrust23THRUST_200600_302600_NS11hip_rocprim26transform_input_iterator_tIfNS8_17counting_iteratorIiNS8_11use_defaultESC_SC_EE11estimate_piEEPffNS8_4plusIfEEEE10hipError_tPvRmT1_T2_T3_mT4_P12ihipStream_tbEUlT_E0_NS1_11comp_targetILNS1_3genE5ELNS1_11target_archE942ELNS1_3gpuE9ELNS1_3repE0EEENS1_30default_config_static_selectorELNS0_4arch9wavefront6targetE1EEEvSM_.uses_vcc, 0
	.set _ZN7rocprim17ROCPRIM_400000_NS6detail17trampoline_kernelINS0_14default_configENS1_22reduce_config_selectorIfEEZNS1_11reduce_implILb1ES3_N6thrust23THRUST_200600_302600_NS11hip_rocprim26transform_input_iterator_tIfNS8_17counting_iteratorIiNS8_11use_defaultESC_SC_EE11estimate_piEEPffNS8_4plusIfEEEE10hipError_tPvRmT1_T2_T3_mT4_P12ihipStream_tbEUlT_E0_NS1_11comp_targetILNS1_3genE5ELNS1_11target_archE942ELNS1_3gpuE9ELNS1_3repE0EEENS1_30default_config_static_selectorELNS0_4arch9wavefront6targetE1EEEvSM_.uses_flat_scratch, 0
	.set _ZN7rocprim17ROCPRIM_400000_NS6detail17trampoline_kernelINS0_14default_configENS1_22reduce_config_selectorIfEEZNS1_11reduce_implILb1ES3_N6thrust23THRUST_200600_302600_NS11hip_rocprim26transform_input_iterator_tIfNS8_17counting_iteratorIiNS8_11use_defaultESC_SC_EE11estimate_piEEPffNS8_4plusIfEEEE10hipError_tPvRmT1_T2_T3_mT4_P12ihipStream_tbEUlT_E0_NS1_11comp_targetILNS1_3genE5ELNS1_11target_archE942ELNS1_3gpuE9ELNS1_3repE0EEENS1_30default_config_static_selectorELNS0_4arch9wavefront6targetE1EEEvSM_.has_dyn_sized_stack, 0
	.set _ZN7rocprim17ROCPRIM_400000_NS6detail17trampoline_kernelINS0_14default_configENS1_22reduce_config_selectorIfEEZNS1_11reduce_implILb1ES3_N6thrust23THRUST_200600_302600_NS11hip_rocprim26transform_input_iterator_tIfNS8_17counting_iteratorIiNS8_11use_defaultESC_SC_EE11estimate_piEEPffNS8_4plusIfEEEE10hipError_tPvRmT1_T2_T3_mT4_P12ihipStream_tbEUlT_E0_NS1_11comp_targetILNS1_3genE5ELNS1_11target_archE942ELNS1_3gpuE9ELNS1_3repE0EEENS1_30default_config_static_selectorELNS0_4arch9wavefront6targetE1EEEvSM_.has_recursion, 0
	.set _ZN7rocprim17ROCPRIM_400000_NS6detail17trampoline_kernelINS0_14default_configENS1_22reduce_config_selectorIfEEZNS1_11reduce_implILb1ES3_N6thrust23THRUST_200600_302600_NS11hip_rocprim26transform_input_iterator_tIfNS8_17counting_iteratorIiNS8_11use_defaultESC_SC_EE11estimate_piEEPffNS8_4plusIfEEEE10hipError_tPvRmT1_T2_T3_mT4_P12ihipStream_tbEUlT_E0_NS1_11comp_targetILNS1_3genE5ELNS1_11target_archE942ELNS1_3gpuE9ELNS1_3repE0EEENS1_30default_config_static_selectorELNS0_4arch9wavefront6targetE1EEEvSM_.has_indirect_call, 0
	.section	.AMDGPU.csdata,"",@progbits
; Kernel info:
; codeLenInByte = 0
; TotalNumSgprs: 4
; NumVgprs: 0
; ScratchSize: 0
; MemoryBound: 0
; FloatMode: 240
; IeeeMode: 1
; LDSByteSize: 0 bytes/workgroup (compile time only)
; SGPRBlocks: 0
; VGPRBlocks: 0
; NumSGPRsForWavesPerEU: 4
; NumVGPRsForWavesPerEU: 1
; Occupancy: 10
; WaveLimiterHint : 0
; COMPUTE_PGM_RSRC2:SCRATCH_EN: 0
; COMPUTE_PGM_RSRC2:USER_SGPR: 6
; COMPUTE_PGM_RSRC2:TRAP_HANDLER: 0
; COMPUTE_PGM_RSRC2:TGID_X_EN: 1
; COMPUTE_PGM_RSRC2:TGID_Y_EN: 0
; COMPUTE_PGM_RSRC2:TGID_Z_EN: 0
; COMPUTE_PGM_RSRC2:TIDIG_COMP_CNT: 0
	.section	.text._ZN7rocprim17ROCPRIM_400000_NS6detail17trampoline_kernelINS0_14default_configENS1_22reduce_config_selectorIfEEZNS1_11reduce_implILb1ES3_N6thrust23THRUST_200600_302600_NS11hip_rocprim26transform_input_iterator_tIfNS8_17counting_iteratorIiNS8_11use_defaultESC_SC_EE11estimate_piEEPffNS8_4plusIfEEEE10hipError_tPvRmT1_T2_T3_mT4_P12ihipStream_tbEUlT_E0_NS1_11comp_targetILNS1_3genE4ELNS1_11target_archE910ELNS1_3gpuE8ELNS1_3repE0EEENS1_30default_config_static_selectorELNS0_4arch9wavefront6targetE1EEEvSM_,"axG",@progbits,_ZN7rocprim17ROCPRIM_400000_NS6detail17trampoline_kernelINS0_14default_configENS1_22reduce_config_selectorIfEEZNS1_11reduce_implILb1ES3_N6thrust23THRUST_200600_302600_NS11hip_rocprim26transform_input_iterator_tIfNS8_17counting_iteratorIiNS8_11use_defaultESC_SC_EE11estimate_piEEPffNS8_4plusIfEEEE10hipError_tPvRmT1_T2_T3_mT4_P12ihipStream_tbEUlT_E0_NS1_11comp_targetILNS1_3genE4ELNS1_11target_archE910ELNS1_3gpuE8ELNS1_3repE0EEENS1_30default_config_static_selectorELNS0_4arch9wavefront6targetE1EEEvSM_,comdat
	.protected	_ZN7rocprim17ROCPRIM_400000_NS6detail17trampoline_kernelINS0_14default_configENS1_22reduce_config_selectorIfEEZNS1_11reduce_implILb1ES3_N6thrust23THRUST_200600_302600_NS11hip_rocprim26transform_input_iterator_tIfNS8_17counting_iteratorIiNS8_11use_defaultESC_SC_EE11estimate_piEEPffNS8_4plusIfEEEE10hipError_tPvRmT1_T2_T3_mT4_P12ihipStream_tbEUlT_E0_NS1_11comp_targetILNS1_3genE4ELNS1_11target_archE910ELNS1_3gpuE8ELNS1_3repE0EEENS1_30default_config_static_selectorELNS0_4arch9wavefront6targetE1EEEvSM_ ; -- Begin function _ZN7rocprim17ROCPRIM_400000_NS6detail17trampoline_kernelINS0_14default_configENS1_22reduce_config_selectorIfEEZNS1_11reduce_implILb1ES3_N6thrust23THRUST_200600_302600_NS11hip_rocprim26transform_input_iterator_tIfNS8_17counting_iteratorIiNS8_11use_defaultESC_SC_EE11estimate_piEEPffNS8_4plusIfEEEE10hipError_tPvRmT1_T2_T3_mT4_P12ihipStream_tbEUlT_E0_NS1_11comp_targetILNS1_3genE4ELNS1_11target_archE910ELNS1_3gpuE8ELNS1_3repE0EEENS1_30default_config_static_selectorELNS0_4arch9wavefront6targetE1EEEvSM_
	.globl	_ZN7rocprim17ROCPRIM_400000_NS6detail17trampoline_kernelINS0_14default_configENS1_22reduce_config_selectorIfEEZNS1_11reduce_implILb1ES3_N6thrust23THRUST_200600_302600_NS11hip_rocprim26transform_input_iterator_tIfNS8_17counting_iteratorIiNS8_11use_defaultESC_SC_EE11estimate_piEEPffNS8_4plusIfEEEE10hipError_tPvRmT1_T2_T3_mT4_P12ihipStream_tbEUlT_E0_NS1_11comp_targetILNS1_3genE4ELNS1_11target_archE910ELNS1_3gpuE8ELNS1_3repE0EEENS1_30default_config_static_selectorELNS0_4arch9wavefront6targetE1EEEvSM_
	.p2align	8
	.type	_ZN7rocprim17ROCPRIM_400000_NS6detail17trampoline_kernelINS0_14default_configENS1_22reduce_config_selectorIfEEZNS1_11reduce_implILb1ES3_N6thrust23THRUST_200600_302600_NS11hip_rocprim26transform_input_iterator_tIfNS8_17counting_iteratorIiNS8_11use_defaultESC_SC_EE11estimate_piEEPffNS8_4plusIfEEEE10hipError_tPvRmT1_T2_T3_mT4_P12ihipStream_tbEUlT_E0_NS1_11comp_targetILNS1_3genE4ELNS1_11target_archE910ELNS1_3gpuE8ELNS1_3repE0EEENS1_30default_config_static_selectorELNS0_4arch9wavefront6targetE1EEEvSM_,@function
_ZN7rocprim17ROCPRIM_400000_NS6detail17trampoline_kernelINS0_14default_configENS1_22reduce_config_selectorIfEEZNS1_11reduce_implILb1ES3_N6thrust23THRUST_200600_302600_NS11hip_rocprim26transform_input_iterator_tIfNS8_17counting_iteratorIiNS8_11use_defaultESC_SC_EE11estimate_piEEPffNS8_4plusIfEEEE10hipError_tPvRmT1_T2_T3_mT4_P12ihipStream_tbEUlT_E0_NS1_11comp_targetILNS1_3genE4ELNS1_11target_archE910ELNS1_3gpuE8ELNS1_3repE0EEENS1_30default_config_static_selectorELNS0_4arch9wavefront6targetE1EEEvSM_: ; @_ZN7rocprim17ROCPRIM_400000_NS6detail17trampoline_kernelINS0_14default_configENS1_22reduce_config_selectorIfEEZNS1_11reduce_implILb1ES3_N6thrust23THRUST_200600_302600_NS11hip_rocprim26transform_input_iterator_tIfNS8_17counting_iteratorIiNS8_11use_defaultESC_SC_EE11estimate_piEEPffNS8_4plusIfEEEE10hipError_tPvRmT1_T2_T3_mT4_P12ihipStream_tbEUlT_E0_NS1_11comp_targetILNS1_3genE4ELNS1_11target_archE910ELNS1_3gpuE8ELNS1_3repE0EEENS1_30default_config_static_selectorELNS0_4arch9wavefront6targetE1EEEvSM_
; %bb.0:
	.section	.rodata,"a",@progbits
	.p2align	6, 0x0
	.amdhsa_kernel _ZN7rocprim17ROCPRIM_400000_NS6detail17trampoline_kernelINS0_14default_configENS1_22reduce_config_selectorIfEEZNS1_11reduce_implILb1ES3_N6thrust23THRUST_200600_302600_NS11hip_rocprim26transform_input_iterator_tIfNS8_17counting_iteratorIiNS8_11use_defaultESC_SC_EE11estimate_piEEPffNS8_4plusIfEEEE10hipError_tPvRmT1_T2_T3_mT4_P12ihipStream_tbEUlT_E0_NS1_11comp_targetILNS1_3genE4ELNS1_11target_archE910ELNS1_3gpuE8ELNS1_3repE0EEENS1_30default_config_static_selectorELNS0_4arch9wavefront6targetE1EEEvSM_
		.amdhsa_group_segment_fixed_size 0
		.amdhsa_private_segment_fixed_size 0
		.amdhsa_kernarg_size 56
		.amdhsa_user_sgpr_count 6
		.amdhsa_user_sgpr_private_segment_buffer 1
		.amdhsa_user_sgpr_dispatch_ptr 0
		.amdhsa_user_sgpr_queue_ptr 0
		.amdhsa_user_sgpr_kernarg_segment_ptr 1
		.amdhsa_user_sgpr_dispatch_id 0
		.amdhsa_user_sgpr_flat_scratch_init 0
		.amdhsa_user_sgpr_private_segment_size 0
		.amdhsa_uses_dynamic_stack 0
		.amdhsa_system_sgpr_private_segment_wavefront_offset 0
		.amdhsa_system_sgpr_workgroup_id_x 1
		.amdhsa_system_sgpr_workgroup_id_y 0
		.amdhsa_system_sgpr_workgroup_id_z 0
		.amdhsa_system_sgpr_workgroup_info 0
		.amdhsa_system_vgpr_workitem_id 0
		.amdhsa_next_free_vgpr 1
		.amdhsa_next_free_sgpr 0
		.amdhsa_reserve_vcc 0
		.amdhsa_reserve_flat_scratch 0
		.amdhsa_float_round_mode_32 0
		.amdhsa_float_round_mode_16_64 0
		.amdhsa_float_denorm_mode_32 3
		.amdhsa_float_denorm_mode_16_64 3
		.amdhsa_dx10_clamp 1
		.amdhsa_ieee_mode 1
		.amdhsa_fp16_overflow 0
		.amdhsa_exception_fp_ieee_invalid_op 0
		.amdhsa_exception_fp_denorm_src 0
		.amdhsa_exception_fp_ieee_div_zero 0
		.amdhsa_exception_fp_ieee_overflow 0
		.amdhsa_exception_fp_ieee_underflow 0
		.amdhsa_exception_fp_ieee_inexact 0
		.amdhsa_exception_int_div_zero 0
	.end_amdhsa_kernel
	.section	.text._ZN7rocprim17ROCPRIM_400000_NS6detail17trampoline_kernelINS0_14default_configENS1_22reduce_config_selectorIfEEZNS1_11reduce_implILb1ES3_N6thrust23THRUST_200600_302600_NS11hip_rocprim26transform_input_iterator_tIfNS8_17counting_iteratorIiNS8_11use_defaultESC_SC_EE11estimate_piEEPffNS8_4plusIfEEEE10hipError_tPvRmT1_T2_T3_mT4_P12ihipStream_tbEUlT_E0_NS1_11comp_targetILNS1_3genE4ELNS1_11target_archE910ELNS1_3gpuE8ELNS1_3repE0EEENS1_30default_config_static_selectorELNS0_4arch9wavefront6targetE1EEEvSM_,"axG",@progbits,_ZN7rocprim17ROCPRIM_400000_NS6detail17trampoline_kernelINS0_14default_configENS1_22reduce_config_selectorIfEEZNS1_11reduce_implILb1ES3_N6thrust23THRUST_200600_302600_NS11hip_rocprim26transform_input_iterator_tIfNS8_17counting_iteratorIiNS8_11use_defaultESC_SC_EE11estimate_piEEPffNS8_4plusIfEEEE10hipError_tPvRmT1_T2_T3_mT4_P12ihipStream_tbEUlT_E0_NS1_11comp_targetILNS1_3genE4ELNS1_11target_archE910ELNS1_3gpuE8ELNS1_3repE0EEENS1_30default_config_static_selectorELNS0_4arch9wavefront6targetE1EEEvSM_,comdat
.Lfunc_end20:
	.size	_ZN7rocprim17ROCPRIM_400000_NS6detail17trampoline_kernelINS0_14default_configENS1_22reduce_config_selectorIfEEZNS1_11reduce_implILb1ES3_N6thrust23THRUST_200600_302600_NS11hip_rocprim26transform_input_iterator_tIfNS8_17counting_iteratorIiNS8_11use_defaultESC_SC_EE11estimate_piEEPffNS8_4plusIfEEEE10hipError_tPvRmT1_T2_T3_mT4_P12ihipStream_tbEUlT_E0_NS1_11comp_targetILNS1_3genE4ELNS1_11target_archE910ELNS1_3gpuE8ELNS1_3repE0EEENS1_30default_config_static_selectorELNS0_4arch9wavefront6targetE1EEEvSM_, .Lfunc_end20-_ZN7rocprim17ROCPRIM_400000_NS6detail17trampoline_kernelINS0_14default_configENS1_22reduce_config_selectorIfEEZNS1_11reduce_implILb1ES3_N6thrust23THRUST_200600_302600_NS11hip_rocprim26transform_input_iterator_tIfNS8_17counting_iteratorIiNS8_11use_defaultESC_SC_EE11estimate_piEEPffNS8_4plusIfEEEE10hipError_tPvRmT1_T2_T3_mT4_P12ihipStream_tbEUlT_E0_NS1_11comp_targetILNS1_3genE4ELNS1_11target_archE910ELNS1_3gpuE8ELNS1_3repE0EEENS1_30default_config_static_selectorELNS0_4arch9wavefront6targetE1EEEvSM_
                                        ; -- End function
	.set _ZN7rocprim17ROCPRIM_400000_NS6detail17trampoline_kernelINS0_14default_configENS1_22reduce_config_selectorIfEEZNS1_11reduce_implILb1ES3_N6thrust23THRUST_200600_302600_NS11hip_rocprim26transform_input_iterator_tIfNS8_17counting_iteratorIiNS8_11use_defaultESC_SC_EE11estimate_piEEPffNS8_4plusIfEEEE10hipError_tPvRmT1_T2_T3_mT4_P12ihipStream_tbEUlT_E0_NS1_11comp_targetILNS1_3genE4ELNS1_11target_archE910ELNS1_3gpuE8ELNS1_3repE0EEENS1_30default_config_static_selectorELNS0_4arch9wavefront6targetE1EEEvSM_.num_vgpr, 0
	.set _ZN7rocprim17ROCPRIM_400000_NS6detail17trampoline_kernelINS0_14default_configENS1_22reduce_config_selectorIfEEZNS1_11reduce_implILb1ES3_N6thrust23THRUST_200600_302600_NS11hip_rocprim26transform_input_iterator_tIfNS8_17counting_iteratorIiNS8_11use_defaultESC_SC_EE11estimate_piEEPffNS8_4plusIfEEEE10hipError_tPvRmT1_T2_T3_mT4_P12ihipStream_tbEUlT_E0_NS1_11comp_targetILNS1_3genE4ELNS1_11target_archE910ELNS1_3gpuE8ELNS1_3repE0EEENS1_30default_config_static_selectorELNS0_4arch9wavefront6targetE1EEEvSM_.num_agpr, 0
	.set _ZN7rocprim17ROCPRIM_400000_NS6detail17trampoline_kernelINS0_14default_configENS1_22reduce_config_selectorIfEEZNS1_11reduce_implILb1ES3_N6thrust23THRUST_200600_302600_NS11hip_rocprim26transform_input_iterator_tIfNS8_17counting_iteratorIiNS8_11use_defaultESC_SC_EE11estimate_piEEPffNS8_4plusIfEEEE10hipError_tPvRmT1_T2_T3_mT4_P12ihipStream_tbEUlT_E0_NS1_11comp_targetILNS1_3genE4ELNS1_11target_archE910ELNS1_3gpuE8ELNS1_3repE0EEENS1_30default_config_static_selectorELNS0_4arch9wavefront6targetE1EEEvSM_.numbered_sgpr, 0
	.set _ZN7rocprim17ROCPRIM_400000_NS6detail17trampoline_kernelINS0_14default_configENS1_22reduce_config_selectorIfEEZNS1_11reduce_implILb1ES3_N6thrust23THRUST_200600_302600_NS11hip_rocprim26transform_input_iterator_tIfNS8_17counting_iteratorIiNS8_11use_defaultESC_SC_EE11estimate_piEEPffNS8_4plusIfEEEE10hipError_tPvRmT1_T2_T3_mT4_P12ihipStream_tbEUlT_E0_NS1_11comp_targetILNS1_3genE4ELNS1_11target_archE910ELNS1_3gpuE8ELNS1_3repE0EEENS1_30default_config_static_selectorELNS0_4arch9wavefront6targetE1EEEvSM_.num_named_barrier, 0
	.set _ZN7rocprim17ROCPRIM_400000_NS6detail17trampoline_kernelINS0_14default_configENS1_22reduce_config_selectorIfEEZNS1_11reduce_implILb1ES3_N6thrust23THRUST_200600_302600_NS11hip_rocprim26transform_input_iterator_tIfNS8_17counting_iteratorIiNS8_11use_defaultESC_SC_EE11estimate_piEEPffNS8_4plusIfEEEE10hipError_tPvRmT1_T2_T3_mT4_P12ihipStream_tbEUlT_E0_NS1_11comp_targetILNS1_3genE4ELNS1_11target_archE910ELNS1_3gpuE8ELNS1_3repE0EEENS1_30default_config_static_selectorELNS0_4arch9wavefront6targetE1EEEvSM_.private_seg_size, 0
	.set _ZN7rocprim17ROCPRIM_400000_NS6detail17trampoline_kernelINS0_14default_configENS1_22reduce_config_selectorIfEEZNS1_11reduce_implILb1ES3_N6thrust23THRUST_200600_302600_NS11hip_rocprim26transform_input_iterator_tIfNS8_17counting_iteratorIiNS8_11use_defaultESC_SC_EE11estimate_piEEPffNS8_4plusIfEEEE10hipError_tPvRmT1_T2_T3_mT4_P12ihipStream_tbEUlT_E0_NS1_11comp_targetILNS1_3genE4ELNS1_11target_archE910ELNS1_3gpuE8ELNS1_3repE0EEENS1_30default_config_static_selectorELNS0_4arch9wavefront6targetE1EEEvSM_.uses_vcc, 0
	.set _ZN7rocprim17ROCPRIM_400000_NS6detail17trampoline_kernelINS0_14default_configENS1_22reduce_config_selectorIfEEZNS1_11reduce_implILb1ES3_N6thrust23THRUST_200600_302600_NS11hip_rocprim26transform_input_iterator_tIfNS8_17counting_iteratorIiNS8_11use_defaultESC_SC_EE11estimate_piEEPffNS8_4plusIfEEEE10hipError_tPvRmT1_T2_T3_mT4_P12ihipStream_tbEUlT_E0_NS1_11comp_targetILNS1_3genE4ELNS1_11target_archE910ELNS1_3gpuE8ELNS1_3repE0EEENS1_30default_config_static_selectorELNS0_4arch9wavefront6targetE1EEEvSM_.uses_flat_scratch, 0
	.set _ZN7rocprim17ROCPRIM_400000_NS6detail17trampoline_kernelINS0_14default_configENS1_22reduce_config_selectorIfEEZNS1_11reduce_implILb1ES3_N6thrust23THRUST_200600_302600_NS11hip_rocprim26transform_input_iterator_tIfNS8_17counting_iteratorIiNS8_11use_defaultESC_SC_EE11estimate_piEEPffNS8_4plusIfEEEE10hipError_tPvRmT1_T2_T3_mT4_P12ihipStream_tbEUlT_E0_NS1_11comp_targetILNS1_3genE4ELNS1_11target_archE910ELNS1_3gpuE8ELNS1_3repE0EEENS1_30default_config_static_selectorELNS0_4arch9wavefront6targetE1EEEvSM_.has_dyn_sized_stack, 0
	.set _ZN7rocprim17ROCPRIM_400000_NS6detail17trampoline_kernelINS0_14default_configENS1_22reduce_config_selectorIfEEZNS1_11reduce_implILb1ES3_N6thrust23THRUST_200600_302600_NS11hip_rocprim26transform_input_iterator_tIfNS8_17counting_iteratorIiNS8_11use_defaultESC_SC_EE11estimate_piEEPffNS8_4plusIfEEEE10hipError_tPvRmT1_T2_T3_mT4_P12ihipStream_tbEUlT_E0_NS1_11comp_targetILNS1_3genE4ELNS1_11target_archE910ELNS1_3gpuE8ELNS1_3repE0EEENS1_30default_config_static_selectorELNS0_4arch9wavefront6targetE1EEEvSM_.has_recursion, 0
	.set _ZN7rocprim17ROCPRIM_400000_NS6detail17trampoline_kernelINS0_14default_configENS1_22reduce_config_selectorIfEEZNS1_11reduce_implILb1ES3_N6thrust23THRUST_200600_302600_NS11hip_rocprim26transform_input_iterator_tIfNS8_17counting_iteratorIiNS8_11use_defaultESC_SC_EE11estimate_piEEPffNS8_4plusIfEEEE10hipError_tPvRmT1_T2_T3_mT4_P12ihipStream_tbEUlT_E0_NS1_11comp_targetILNS1_3genE4ELNS1_11target_archE910ELNS1_3gpuE8ELNS1_3repE0EEENS1_30default_config_static_selectorELNS0_4arch9wavefront6targetE1EEEvSM_.has_indirect_call, 0
	.section	.AMDGPU.csdata,"",@progbits
; Kernel info:
; codeLenInByte = 0
; TotalNumSgprs: 4
; NumVgprs: 0
; ScratchSize: 0
; MemoryBound: 0
; FloatMode: 240
; IeeeMode: 1
; LDSByteSize: 0 bytes/workgroup (compile time only)
; SGPRBlocks: 0
; VGPRBlocks: 0
; NumSGPRsForWavesPerEU: 4
; NumVGPRsForWavesPerEU: 1
; Occupancy: 10
; WaveLimiterHint : 0
; COMPUTE_PGM_RSRC2:SCRATCH_EN: 0
; COMPUTE_PGM_RSRC2:USER_SGPR: 6
; COMPUTE_PGM_RSRC2:TRAP_HANDLER: 0
; COMPUTE_PGM_RSRC2:TGID_X_EN: 1
; COMPUTE_PGM_RSRC2:TGID_Y_EN: 0
; COMPUTE_PGM_RSRC2:TGID_Z_EN: 0
; COMPUTE_PGM_RSRC2:TIDIG_COMP_CNT: 0
	.section	.text._ZN7rocprim17ROCPRIM_400000_NS6detail17trampoline_kernelINS0_14default_configENS1_22reduce_config_selectorIfEEZNS1_11reduce_implILb1ES3_N6thrust23THRUST_200600_302600_NS11hip_rocprim26transform_input_iterator_tIfNS8_17counting_iteratorIiNS8_11use_defaultESC_SC_EE11estimate_piEEPffNS8_4plusIfEEEE10hipError_tPvRmT1_T2_T3_mT4_P12ihipStream_tbEUlT_E0_NS1_11comp_targetILNS1_3genE3ELNS1_11target_archE908ELNS1_3gpuE7ELNS1_3repE0EEENS1_30default_config_static_selectorELNS0_4arch9wavefront6targetE1EEEvSM_,"axG",@progbits,_ZN7rocprim17ROCPRIM_400000_NS6detail17trampoline_kernelINS0_14default_configENS1_22reduce_config_selectorIfEEZNS1_11reduce_implILb1ES3_N6thrust23THRUST_200600_302600_NS11hip_rocprim26transform_input_iterator_tIfNS8_17counting_iteratorIiNS8_11use_defaultESC_SC_EE11estimate_piEEPffNS8_4plusIfEEEE10hipError_tPvRmT1_T2_T3_mT4_P12ihipStream_tbEUlT_E0_NS1_11comp_targetILNS1_3genE3ELNS1_11target_archE908ELNS1_3gpuE7ELNS1_3repE0EEENS1_30default_config_static_selectorELNS0_4arch9wavefront6targetE1EEEvSM_,comdat
	.protected	_ZN7rocprim17ROCPRIM_400000_NS6detail17trampoline_kernelINS0_14default_configENS1_22reduce_config_selectorIfEEZNS1_11reduce_implILb1ES3_N6thrust23THRUST_200600_302600_NS11hip_rocprim26transform_input_iterator_tIfNS8_17counting_iteratorIiNS8_11use_defaultESC_SC_EE11estimate_piEEPffNS8_4plusIfEEEE10hipError_tPvRmT1_T2_T3_mT4_P12ihipStream_tbEUlT_E0_NS1_11comp_targetILNS1_3genE3ELNS1_11target_archE908ELNS1_3gpuE7ELNS1_3repE0EEENS1_30default_config_static_selectorELNS0_4arch9wavefront6targetE1EEEvSM_ ; -- Begin function _ZN7rocprim17ROCPRIM_400000_NS6detail17trampoline_kernelINS0_14default_configENS1_22reduce_config_selectorIfEEZNS1_11reduce_implILb1ES3_N6thrust23THRUST_200600_302600_NS11hip_rocprim26transform_input_iterator_tIfNS8_17counting_iteratorIiNS8_11use_defaultESC_SC_EE11estimate_piEEPffNS8_4plusIfEEEE10hipError_tPvRmT1_T2_T3_mT4_P12ihipStream_tbEUlT_E0_NS1_11comp_targetILNS1_3genE3ELNS1_11target_archE908ELNS1_3gpuE7ELNS1_3repE0EEENS1_30default_config_static_selectorELNS0_4arch9wavefront6targetE1EEEvSM_
	.globl	_ZN7rocprim17ROCPRIM_400000_NS6detail17trampoline_kernelINS0_14default_configENS1_22reduce_config_selectorIfEEZNS1_11reduce_implILb1ES3_N6thrust23THRUST_200600_302600_NS11hip_rocprim26transform_input_iterator_tIfNS8_17counting_iteratorIiNS8_11use_defaultESC_SC_EE11estimate_piEEPffNS8_4plusIfEEEE10hipError_tPvRmT1_T2_T3_mT4_P12ihipStream_tbEUlT_E0_NS1_11comp_targetILNS1_3genE3ELNS1_11target_archE908ELNS1_3gpuE7ELNS1_3repE0EEENS1_30default_config_static_selectorELNS0_4arch9wavefront6targetE1EEEvSM_
	.p2align	8
	.type	_ZN7rocprim17ROCPRIM_400000_NS6detail17trampoline_kernelINS0_14default_configENS1_22reduce_config_selectorIfEEZNS1_11reduce_implILb1ES3_N6thrust23THRUST_200600_302600_NS11hip_rocprim26transform_input_iterator_tIfNS8_17counting_iteratorIiNS8_11use_defaultESC_SC_EE11estimate_piEEPffNS8_4plusIfEEEE10hipError_tPvRmT1_T2_T3_mT4_P12ihipStream_tbEUlT_E0_NS1_11comp_targetILNS1_3genE3ELNS1_11target_archE908ELNS1_3gpuE7ELNS1_3repE0EEENS1_30default_config_static_selectorELNS0_4arch9wavefront6targetE1EEEvSM_,@function
_ZN7rocprim17ROCPRIM_400000_NS6detail17trampoline_kernelINS0_14default_configENS1_22reduce_config_selectorIfEEZNS1_11reduce_implILb1ES3_N6thrust23THRUST_200600_302600_NS11hip_rocprim26transform_input_iterator_tIfNS8_17counting_iteratorIiNS8_11use_defaultESC_SC_EE11estimate_piEEPffNS8_4plusIfEEEE10hipError_tPvRmT1_T2_T3_mT4_P12ihipStream_tbEUlT_E0_NS1_11comp_targetILNS1_3genE3ELNS1_11target_archE908ELNS1_3gpuE7ELNS1_3repE0EEENS1_30default_config_static_selectorELNS0_4arch9wavefront6targetE1EEEvSM_: ; @_ZN7rocprim17ROCPRIM_400000_NS6detail17trampoline_kernelINS0_14default_configENS1_22reduce_config_selectorIfEEZNS1_11reduce_implILb1ES3_N6thrust23THRUST_200600_302600_NS11hip_rocprim26transform_input_iterator_tIfNS8_17counting_iteratorIiNS8_11use_defaultESC_SC_EE11estimate_piEEPffNS8_4plusIfEEEE10hipError_tPvRmT1_T2_T3_mT4_P12ihipStream_tbEUlT_E0_NS1_11comp_targetILNS1_3genE3ELNS1_11target_archE908ELNS1_3gpuE7ELNS1_3repE0EEENS1_30default_config_static_selectorELNS0_4arch9wavefront6targetE1EEEvSM_
; %bb.0:
	.section	.rodata,"a",@progbits
	.p2align	6, 0x0
	.amdhsa_kernel _ZN7rocprim17ROCPRIM_400000_NS6detail17trampoline_kernelINS0_14default_configENS1_22reduce_config_selectorIfEEZNS1_11reduce_implILb1ES3_N6thrust23THRUST_200600_302600_NS11hip_rocprim26transform_input_iterator_tIfNS8_17counting_iteratorIiNS8_11use_defaultESC_SC_EE11estimate_piEEPffNS8_4plusIfEEEE10hipError_tPvRmT1_T2_T3_mT4_P12ihipStream_tbEUlT_E0_NS1_11comp_targetILNS1_3genE3ELNS1_11target_archE908ELNS1_3gpuE7ELNS1_3repE0EEENS1_30default_config_static_selectorELNS0_4arch9wavefront6targetE1EEEvSM_
		.amdhsa_group_segment_fixed_size 0
		.amdhsa_private_segment_fixed_size 0
		.amdhsa_kernarg_size 56
		.amdhsa_user_sgpr_count 6
		.amdhsa_user_sgpr_private_segment_buffer 1
		.amdhsa_user_sgpr_dispatch_ptr 0
		.amdhsa_user_sgpr_queue_ptr 0
		.amdhsa_user_sgpr_kernarg_segment_ptr 1
		.amdhsa_user_sgpr_dispatch_id 0
		.amdhsa_user_sgpr_flat_scratch_init 0
		.amdhsa_user_sgpr_private_segment_size 0
		.amdhsa_uses_dynamic_stack 0
		.amdhsa_system_sgpr_private_segment_wavefront_offset 0
		.amdhsa_system_sgpr_workgroup_id_x 1
		.amdhsa_system_sgpr_workgroup_id_y 0
		.amdhsa_system_sgpr_workgroup_id_z 0
		.amdhsa_system_sgpr_workgroup_info 0
		.amdhsa_system_vgpr_workitem_id 0
		.amdhsa_next_free_vgpr 1
		.amdhsa_next_free_sgpr 0
		.amdhsa_reserve_vcc 0
		.amdhsa_reserve_flat_scratch 0
		.amdhsa_float_round_mode_32 0
		.amdhsa_float_round_mode_16_64 0
		.amdhsa_float_denorm_mode_32 3
		.amdhsa_float_denorm_mode_16_64 3
		.amdhsa_dx10_clamp 1
		.amdhsa_ieee_mode 1
		.amdhsa_fp16_overflow 0
		.amdhsa_exception_fp_ieee_invalid_op 0
		.amdhsa_exception_fp_denorm_src 0
		.amdhsa_exception_fp_ieee_div_zero 0
		.amdhsa_exception_fp_ieee_overflow 0
		.amdhsa_exception_fp_ieee_underflow 0
		.amdhsa_exception_fp_ieee_inexact 0
		.amdhsa_exception_int_div_zero 0
	.end_amdhsa_kernel
	.section	.text._ZN7rocprim17ROCPRIM_400000_NS6detail17trampoline_kernelINS0_14default_configENS1_22reduce_config_selectorIfEEZNS1_11reduce_implILb1ES3_N6thrust23THRUST_200600_302600_NS11hip_rocprim26transform_input_iterator_tIfNS8_17counting_iteratorIiNS8_11use_defaultESC_SC_EE11estimate_piEEPffNS8_4plusIfEEEE10hipError_tPvRmT1_T2_T3_mT4_P12ihipStream_tbEUlT_E0_NS1_11comp_targetILNS1_3genE3ELNS1_11target_archE908ELNS1_3gpuE7ELNS1_3repE0EEENS1_30default_config_static_selectorELNS0_4arch9wavefront6targetE1EEEvSM_,"axG",@progbits,_ZN7rocprim17ROCPRIM_400000_NS6detail17trampoline_kernelINS0_14default_configENS1_22reduce_config_selectorIfEEZNS1_11reduce_implILb1ES3_N6thrust23THRUST_200600_302600_NS11hip_rocprim26transform_input_iterator_tIfNS8_17counting_iteratorIiNS8_11use_defaultESC_SC_EE11estimate_piEEPffNS8_4plusIfEEEE10hipError_tPvRmT1_T2_T3_mT4_P12ihipStream_tbEUlT_E0_NS1_11comp_targetILNS1_3genE3ELNS1_11target_archE908ELNS1_3gpuE7ELNS1_3repE0EEENS1_30default_config_static_selectorELNS0_4arch9wavefront6targetE1EEEvSM_,comdat
.Lfunc_end21:
	.size	_ZN7rocprim17ROCPRIM_400000_NS6detail17trampoline_kernelINS0_14default_configENS1_22reduce_config_selectorIfEEZNS1_11reduce_implILb1ES3_N6thrust23THRUST_200600_302600_NS11hip_rocprim26transform_input_iterator_tIfNS8_17counting_iteratorIiNS8_11use_defaultESC_SC_EE11estimate_piEEPffNS8_4plusIfEEEE10hipError_tPvRmT1_T2_T3_mT4_P12ihipStream_tbEUlT_E0_NS1_11comp_targetILNS1_3genE3ELNS1_11target_archE908ELNS1_3gpuE7ELNS1_3repE0EEENS1_30default_config_static_selectorELNS0_4arch9wavefront6targetE1EEEvSM_, .Lfunc_end21-_ZN7rocprim17ROCPRIM_400000_NS6detail17trampoline_kernelINS0_14default_configENS1_22reduce_config_selectorIfEEZNS1_11reduce_implILb1ES3_N6thrust23THRUST_200600_302600_NS11hip_rocprim26transform_input_iterator_tIfNS8_17counting_iteratorIiNS8_11use_defaultESC_SC_EE11estimate_piEEPffNS8_4plusIfEEEE10hipError_tPvRmT1_T2_T3_mT4_P12ihipStream_tbEUlT_E0_NS1_11comp_targetILNS1_3genE3ELNS1_11target_archE908ELNS1_3gpuE7ELNS1_3repE0EEENS1_30default_config_static_selectorELNS0_4arch9wavefront6targetE1EEEvSM_
                                        ; -- End function
	.set _ZN7rocprim17ROCPRIM_400000_NS6detail17trampoline_kernelINS0_14default_configENS1_22reduce_config_selectorIfEEZNS1_11reduce_implILb1ES3_N6thrust23THRUST_200600_302600_NS11hip_rocprim26transform_input_iterator_tIfNS8_17counting_iteratorIiNS8_11use_defaultESC_SC_EE11estimate_piEEPffNS8_4plusIfEEEE10hipError_tPvRmT1_T2_T3_mT4_P12ihipStream_tbEUlT_E0_NS1_11comp_targetILNS1_3genE3ELNS1_11target_archE908ELNS1_3gpuE7ELNS1_3repE0EEENS1_30default_config_static_selectorELNS0_4arch9wavefront6targetE1EEEvSM_.num_vgpr, 0
	.set _ZN7rocprim17ROCPRIM_400000_NS6detail17trampoline_kernelINS0_14default_configENS1_22reduce_config_selectorIfEEZNS1_11reduce_implILb1ES3_N6thrust23THRUST_200600_302600_NS11hip_rocprim26transform_input_iterator_tIfNS8_17counting_iteratorIiNS8_11use_defaultESC_SC_EE11estimate_piEEPffNS8_4plusIfEEEE10hipError_tPvRmT1_T2_T3_mT4_P12ihipStream_tbEUlT_E0_NS1_11comp_targetILNS1_3genE3ELNS1_11target_archE908ELNS1_3gpuE7ELNS1_3repE0EEENS1_30default_config_static_selectorELNS0_4arch9wavefront6targetE1EEEvSM_.num_agpr, 0
	.set _ZN7rocprim17ROCPRIM_400000_NS6detail17trampoline_kernelINS0_14default_configENS1_22reduce_config_selectorIfEEZNS1_11reduce_implILb1ES3_N6thrust23THRUST_200600_302600_NS11hip_rocprim26transform_input_iterator_tIfNS8_17counting_iteratorIiNS8_11use_defaultESC_SC_EE11estimate_piEEPffNS8_4plusIfEEEE10hipError_tPvRmT1_T2_T3_mT4_P12ihipStream_tbEUlT_E0_NS1_11comp_targetILNS1_3genE3ELNS1_11target_archE908ELNS1_3gpuE7ELNS1_3repE0EEENS1_30default_config_static_selectorELNS0_4arch9wavefront6targetE1EEEvSM_.numbered_sgpr, 0
	.set _ZN7rocprim17ROCPRIM_400000_NS6detail17trampoline_kernelINS0_14default_configENS1_22reduce_config_selectorIfEEZNS1_11reduce_implILb1ES3_N6thrust23THRUST_200600_302600_NS11hip_rocprim26transform_input_iterator_tIfNS8_17counting_iteratorIiNS8_11use_defaultESC_SC_EE11estimate_piEEPffNS8_4plusIfEEEE10hipError_tPvRmT1_T2_T3_mT4_P12ihipStream_tbEUlT_E0_NS1_11comp_targetILNS1_3genE3ELNS1_11target_archE908ELNS1_3gpuE7ELNS1_3repE0EEENS1_30default_config_static_selectorELNS0_4arch9wavefront6targetE1EEEvSM_.num_named_barrier, 0
	.set _ZN7rocprim17ROCPRIM_400000_NS6detail17trampoline_kernelINS0_14default_configENS1_22reduce_config_selectorIfEEZNS1_11reduce_implILb1ES3_N6thrust23THRUST_200600_302600_NS11hip_rocprim26transform_input_iterator_tIfNS8_17counting_iteratorIiNS8_11use_defaultESC_SC_EE11estimate_piEEPffNS8_4plusIfEEEE10hipError_tPvRmT1_T2_T3_mT4_P12ihipStream_tbEUlT_E0_NS1_11comp_targetILNS1_3genE3ELNS1_11target_archE908ELNS1_3gpuE7ELNS1_3repE0EEENS1_30default_config_static_selectorELNS0_4arch9wavefront6targetE1EEEvSM_.private_seg_size, 0
	.set _ZN7rocprim17ROCPRIM_400000_NS6detail17trampoline_kernelINS0_14default_configENS1_22reduce_config_selectorIfEEZNS1_11reduce_implILb1ES3_N6thrust23THRUST_200600_302600_NS11hip_rocprim26transform_input_iterator_tIfNS8_17counting_iteratorIiNS8_11use_defaultESC_SC_EE11estimate_piEEPffNS8_4plusIfEEEE10hipError_tPvRmT1_T2_T3_mT4_P12ihipStream_tbEUlT_E0_NS1_11comp_targetILNS1_3genE3ELNS1_11target_archE908ELNS1_3gpuE7ELNS1_3repE0EEENS1_30default_config_static_selectorELNS0_4arch9wavefront6targetE1EEEvSM_.uses_vcc, 0
	.set _ZN7rocprim17ROCPRIM_400000_NS6detail17trampoline_kernelINS0_14default_configENS1_22reduce_config_selectorIfEEZNS1_11reduce_implILb1ES3_N6thrust23THRUST_200600_302600_NS11hip_rocprim26transform_input_iterator_tIfNS8_17counting_iteratorIiNS8_11use_defaultESC_SC_EE11estimate_piEEPffNS8_4plusIfEEEE10hipError_tPvRmT1_T2_T3_mT4_P12ihipStream_tbEUlT_E0_NS1_11comp_targetILNS1_3genE3ELNS1_11target_archE908ELNS1_3gpuE7ELNS1_3repE0EEENS1_30default_config_static_selectorELNS0_4arch9wavefront6targetE1EEEvSM_.uses_flat_scratch, 0
	.set _ZN7rocprim17ROCPRIM_400000_NS6detail17trampoline_kernelINS0_14default_configENS1_22reduce_config_selectorIfEEZNS1_11reduce_implILb1ES3_N6thrust23THRUST_200600_302600_NS11hip_rocprim26transform_input_iterator_tIfNS8_17counting_iteratorIiNS8_11use_defaultESC_SC_EE11estimate_piEEPffNS8_4plusIfEEEE10hipError_tPvRmT1_T2_T3_mT4_P12ihipStream_tbEUlT_E0_NS1_11comp_targetILNS1_3genE3ELNS1_11target_archE908ELNS1_3gpuE7ELNS1_3repE0EEENS1_30default_config_static_selectorELNS0_4arch9wavefront6targetE1EEEvSM_.has_dyn_sized_stack, 0
	.set _ZN7rocprim17ROCPRIM_400000_NS6detail17trampoline_kernelINS0_14default_configENS1_22reduce_config_selectorIfEEZNS1_11reduce_implILb1ES3_N6thrust23THRUST_200600_302600_NS11hip_rocprim26transform_input_iterator_tIfNS8_17counting_iteratorIiNS8_11use_defaultESC_SC_EE11estimate_piEEPffNS8_4plusIfEEEE10hipError_tPvRmT1_T2_T3_mT4_P12ihipStream_tbEUlT_E0_NS1_11comp_targetILNS1_3genE3ELNS1_11target_archE908ELNS1_3gpuE7ELNS1_3repE0EEENS1_30default_config_static_selectorELNS0_4arch9wavefront6targetE1EEEvSM_.has_recursion, 0
	.set _ZN7rocprim17ROCPRIM_400000_NS6detail17trampoline_kernelINS0_14default_configENS1_22reduce_config_selectorIfEEZNS1_11reduce_implILb1ES3_N6thrust23THRUST_200600_302600_NS11hip_rocprim26transform_input_iterator_tIfNS8_17counting_iteratorIiNS8_11use_defaultESC_SC_EE11estimate_piEEPffNS8_4plusIfEEEE10hipError_tPvRmT1_T2_T3_mT4_P12ihipStream_tbEUlT_E0_NS1_11comp_targetILNS1_3genE3ELNS1_11target_archE908ELNS1_3gpuE7ELNS1_3repE0EEENS1_30default_config_static_selectorELNS0_4arch9wavefront6targetE1EEEvSM_.has_indirect_call, 0
	.section	.AMDGPU.csdata,"",@progbits
; Kernel info:
; codeLenInByte = 0
; TotalNumSgprs: 4
; NumVgprs: 0
; ScratchSize: 0
; MemoryBound: 0
; FloatMode: 240
; IeeeMode: 1
; LDSByteSize: 0 bytes/workgroup (compile time only)
; SGPRBlocks: 0
; VGPRBlocks: 0
; NumSGPRsForWavesPerEU: 4
; NumVGPRsForWavesPerEU: 1
; Occupancy: 10
; WaveLimiterHint : 0
; COMPUTE_PGM_RSRC2:SCRATCH_EN: 0
; COMPUTE_PGM_RSRC2:USER_SGPR: 6
; COMPUTE_PGM_RSRC2:TRAP_HANDLER: 0
; COMPUTE_PGM_RSRC2:TGID_X_EN: 1
; COMPUTE_PGM_RSRC2:TGID_Y_EN: 0
; COMPUTE_PGM_RSRC2:TGID_Z_EN: 0
; COMPUTE_PGM_RSRC2:TIDIG_COMP_CNT: 0
	.section	.text._ZN7rocprim17ROCPRIM_400000_NS6detail17trampoline_kernelINS0_14default_configENS1_22reduce_config_selectorIfEEZNS1_11reduce_implILb1ES3_N6thrust23THRUST_200600_302600_NS11hip_rocprim26transform_input_iterator_tIfNS8_17counting_iteratorIiNS8_11use_defaultESC_SC_EE11estimate_piEEPffNS8_4plusIfEEEE10hipError_tPvRmT1_T2_T3_mT4_P12ihipStream_tbEUlT_E0_NS1_11comp_targetILNS1_3genE2ELNS1_11target_archE906ELNS1_3gpuE6ELNS1_3repE0EEENS1_30default_config_static_selectorELNS0_4arch9wavefront6targetE1EEEvSM_,"axG",@progbits,_ZN7rocprim17ROCPRIM_400000_NS6detail17trampoline_kernelINS0_14default_configENS1_22reduce_config_selectorIfEEZNS1_11reduce_implILb1ES3_N6thrust23THRUST_200600_302600_NS11hip_rocprim26transform_input_iterator_tIfNS8_17counting_iteratorIiNS8_11use_defaultESC_SC_EE11estimate_piEEPffNS8_4plusIfEEEE10hipError_tPvRmT1_T2_T3_mT4_P12ihipStream_tbEUlT_E0_NS1_11comp_targetILNS1_3genE2ELNS1_11target_archE906ELNS1_3gpuE6ELNS1_3repE0EEENS1_30default_config_static_selectorELNS0_4arch9wavefront6targetE1EEEvSM_,comdat
	.protected	_ZN7rocprim17ROCPRIM_400000_NS6detail17trampoline_kernelINS0_14default_configENS1_22reduce_config_selectorIfEEZNS1_11reduce_implILb1ES3_N6thrust23THRUST_200600_302600_NS11hip_rocprim26transform_input_iterator_tIfNS8_17counting_iteratorIiNS8_11use_defaultESC_SC_EE11estimate_piEEPffNS8_4plusIfEEEE10hipError_tPvRmT1_T2_T3_mT4_P12ihipStream_tbEUlT_E0_NS1_11comp_targetILNS1_3genE2ELNS1_11target_archE906ELNS1_3gpuE6ELNS1_3repE0EEENS1_30default_config_static_selectorELNS0_4arch9wavefront6targetE1EEEvSM_ ; -- Begin function _ZN7rocprim17ROCPRIM_400000_NS6detail17trampoline_kernelINS0_14default_configENS1_22reduce_config_selectorIfEEZNS1_11reduce_implILb1ES3_N6thrust23THRUST_200600_302600_NS11hip_rocprim26transform_input_iterator_tIfNS8_17counting_iteratorIiNS8_11use_defaultESC_SC_EE11estimate_piEEPffNS8_4plusIfEEEE10hipError_tPvRmT1_T2_T3_mT4_P12ihipStream_tbEUlT_E0_NS1_11comp_targetILNS1_3genE2ELNS1_11target_archE906ELNS1_3gpuE6ELNS1_3repE0EEENS1_30default_config_static_selectorELNS0_4arch9wavefront6targetE1EEEvSM_
	.globl	_ZN7rocprim17ROCPRIM_400000_NS6detail17trampoline_kernelINS0_14default_configENS1_22reduce_config_selectorIfEEZNS1_11reduce_implILb1ES3_N6thrust23THRUST_200600_302600_NS11hip_rocprim26transform_input_iterator_tIfNS8_17counting_iteratorIiNS8_11use_defaultESC_SC_EE11estimate_piEEPffNS8_4plusIfEEEE10hipError_tPvRmT1_T2_T3_mT4_P12ihipStream_tbEUlT_E0_NS1_11comp_targetILNS1_3genE2ELNS1_11target_archE906ELNS1_3gpuE6ELNS1_3repE0EEENS1_30default_config_static_selectorELNS0_4arch9wavefront6targetE1EEEvSM_
	.p2align	8
	.type	_ZN7rocprim17ROCPRIM_400000_NS6detail17trampoline_kernelINS0_14default_configENS1_22reduce_config_selectorIfEEZNS1_11reduce_implILb1ES3_N6thrust23THRUST_200600_302600_NS11hip_rocprim26transform_input_iterator_tIfNS8_17counting_iteratorIiNS8_11use_defaultESC_SC_EE11estimate_piEEPffNS8_4plusIfEEEE10hipError_tPvRmT1_T2_T3_mT4_P12ihipStream_tbEUlT_E0_NS1_11comp_targetILNS1_3genE2ELNS1_11target_archE906ELNS1_3gpuE6ELNS1_3repE0EEENS1_30default_config_static_selectorELNS0_4arch9wavefront6targetE1EEEvSM_,@function
_ZN7rocprim17ROCPRIM_400000_NS6detail17trampoline_kernelINS0_14default_configENS1_22reduce_config_selectorIfEEZNS1_11reduce_implILb1ES3_N6thrust23THRUST_200600_302600_NS11hip_rocprim26transform_input_iterator_tIfNS8_17counting_iteratorIiNS8_11use_defaultESC_SC_EE11estimate_piEEPffNS8_4plusIfEEEE10hipError_tPvRmT1_T2_T3_mT4_P12ihipStream_tbEUlT_E0_NS1_11comp_targetILNS1_3genE2ELNS1_11target_archE906ELNS1_3gpuE6ELNS1_3repE0EEENS1_30default_config_static_selectorELNS0_4arch9wavefront6targetE1EEEvSM_: ; @_ZN7rocprim17ROCPRIM_400000_NS6detail17trampoline_kernelINS0_14default_configENS1_22reduce_config_selectorIfEEZNS1_11reduce_implILb1ES3_N6thrust23THRUST_200600_302600_NS11hip_rocprim26transform_input_iterator_tIfNS8_17counting_iteratorIiNS8_11use_defaultESC_SC_EE11estimate_piEEPffNS8_4plusIfEEEE10hipError_tPvRmT1_T2_T3_mT4_P12ihipStream_tbEUlT_E0_NS1_11comp_targetILNS1_3genE2ELNS1_11target_archE906ELNS1_3gpuE6ELNS1_3repE0EEENS1_30default_config_static_selectorELNS0_4arch9wavefront6targetE1EEEvSM_
; %bb.0:
	s_load_dwordx8 s[8:15], s[4:5], 0x8
	s_load_dword s2, s[4:5], 0x0
	s_load_dwordx2 s[16:17], s[4:5], 0x28
	s_lshl_b32 s20, s6, 10
	s_mov_b32 s7, 0
	s_waitcnt lgkmcnt(0)
	s_lshr_b64 s[0:1], s[10:11], 10
	s_add_i32 s24, s2, s20
	s_add_i32 s24, s24, s8
	s_cmp_lg_u64 s[0:1], s[6:7]
	s_cbranch_scc0 .LBB22_6
; %bb.1:
	v_add_u32_e32 v1, s24, v0
	s_movk_i32 s0, 0x1388
	v_mul_lo_u32 v1, v1, s0
	v_mov_b32_e32 v3, 1
	v_cmp_ne_u32_e32 vcc, 0, v1
	s_and_saveexec_b64 s[0:1], vcc
	s_cbranch_execz .LBB22_8
; %bb.2:
	v_mov_b32_e32 v3, 0
	v_mov_b32_e32 v2, v3
	;; [unrolled: 1-line block ×4, first 2 shown]
	s_mov_b64 s[8:9], 0xbc8f
	v_mov_b32_e32 v7, 0
	s_mov_b64 s[2:3], 0
	s_brev_b32 s21, -2
	v_mov_b32_e32 v4, v1
	s_branch .LBB22_4
.LBB22_3:                               ;   in Loop: Header=BB22_4 Depth=1
	s_or_b64 exec, exec, s[18:19]
	s_mul_i32 s9, s8, s9
	s_mul_hi_u32 s18, s8, s8
	s_add_i32 s18, s18, s9
	s_add_i32 s18, s18, s9
	s_mul_i32 s19, s8, s8
	s_mul_i32 s9, s18, 3
	s_mul_hi_u32 s22, s19, 3
	s_mul_hi_u32 s8, s18, 3
	s_add_u32 s9, s9, s22
	s_addc_u32 s8, s8, 0
	s_mul_i32 s23, s19, 0x80000001
	s_mul_hi_u32 s22, s19, 0x80000001
	s_add_u32 s9, s23, s9
	s_addc_u32 s9, s22, 0
	s_add_u32 s8, s8, s9
	s_addc_u32 s9, 0, 0
	s_mul_i32 s23, s18, 0x80000001
	s_mul_hi_u32 s22, s18, 0x80000001
	s_add_u32 s8, s23, s8
	s_addc_u32 s9, s22, s9
	s_lshr_b32 s22, s9, 30
	s_lshr_b64 s[8:9], s[8:9], 30
	s_mul_i32 s22, s22, 0x7fffffff
	s_mul_hi_u32 s9, s8, 0x7fffffff
	v_lshrrev_b64 v[8:9], 1, v[4:5]
	s_add_i32 s9, s9, s22
	s_mul_i32 s8, s8, 0x7fffffff
	s_sub_u32 s8, s19, s8
	v_cmp_gt_u64_e32 vcc, 2, v[4:5]
	s_subb_u32 s9, s18, s9
	v_mov_b32_e32 v4, v8
	s_or_b64 s[2:3], vcc, s[2:3]
	v_mov_b32_e32 v5, v9
	s_andn2_b64 exec, exec, s[2:3]
	s_cbranch_execz .LBB22_7
.LBB22_4:                               ; =>This Inner Loop Header: Depth=1
	v_and_b32_e32 v2, 1, v4
	v_cmp_eq_u32_e32 vcc, 1, v2
	s_and_saveexec_b64 s[18:19], vcc
	s_cbranch_execz .LBB22_3
; %bb.5:                                ;   in Loop: Header=BB22_4 Depth=1
	v_mad_u64_u32 v[8:9], s[22:23], s8, v6, 0
	v_mul_lo_u32 v6, s9, v6
	v_mul_lo_u32 v7, s8, v7
	v_mul_hi_u32 v2, v8, 5
	v_add3_u32 v11, v9, v7, v6
	v_mad_u64_u32 v[6:7], s[22:23], v11, 5, v[2:3]
	v_mov_b32_e32 v2, v6
	v_mad_u64_u32 v[9:10], s[22:23], v8, 2, v[2:3]
	v_add_co_u32_e32 v6, vcc, v7, v10
	v_addc_co_u32_e64 v7, s[22:23], 0, 0, vcc
	v_mad_u64_u32 v[6:7], s[22:23], v11, 2, v[6:7]
	v_sub_co_u32_e32 v9, vcc, v8, v6
	v_subb_co_u32_e32 v10, vcc, v11, v7, vcc
	v_lshrrev_b64 v[9:10], 1, v[9:10]
	v_add_co_u32_e32 v2, vcc, v9, v6
	v_addc_co_u32_e32 v9, vcc, v10, v7, vcc
	v_alignbit_b32 v2, v9, v2, 30
	v_mad_u64_u32 v[6:7], s[22:23], v2, s21, 0
	v_lshrrev_b32_e32 v9, 30, v9
	v_mov_b32_e32 v2, v7
	v_mad_u64_u32 v[9:10], s[22:23], v9, s21, v[2:3]
	v_sub_co_u32_e32 v6, vcc, v8, v6
	v_subb_co_u32_e32 v7, vcc, v11, v9, vcc
	s_branch .LBB22_3
.LBB22_6:
                                        ; implicit-def: $vgpr1
	s_load_dword s26, s[4:5], 0x30
	s_cbranch_execnz .LBB22_39
	s_branch .LBB22_84
.LBB22_7:
	s_or_b64 exec, exec, s[2:3]
	v_add_u32_e32 v2, 0x80000001, v6
	v_min_u32_e32 v2, v2, v6
	v_add_u32_e32 v3, 0x80000001, v2
	v_min_u32_e32 v3, v3, v2
.LBB22_8:
	s_or_b64 exec, exec, s[0:1]
	v_mov_b32_e32 v8, 0
	s_movk_i32 s2, 0x1388
	s_mov_b32 s3, 0xbc8f1391
	s_mov_b32 s8, 0xbc8f
	s_brev_b32 s9, 12
	s_mov_b32 s18, 0xf800000
	v_mov_b32_e32 v2, 0x260
.LBB22_9:                               ; =>This Inner Loop Header: Depth=1
	v_mul_hi_u32 v4, v3, s3
	v_add_f32_e32 v5, 1.0, v8
	s_add_i32 s2, s2, -2
	s_cmp_lg_u32 s2, 0
	v_lshrrev_b32_e32 v4, 15, v4
	v_mul_u32_u24_e32 v6, 0xadc8, v4
	v_sub_u32_e32 v3, v3, v6
	v_mul_lo_u32 v3, v3, s8
	v_mul_u32_u24_e32 v4, 0xd47, v4
	v_xor_b32_e32 v6, 0x7fffffff, v4
	v_sub_u32_e32 v7, 0, v4
	v_cmp_lt_u32_e32 vcc, v3, v4
	v_cndmask_b32_e32 v4, v7, v6, vcc
	v_add_u32_e32 v3, v4, v3
	v_mul_hi_u32 v6, v3, s3
	v_add_u32_e32 v4, -1, v3
	v_cvt_f32_u32_e32 v4, v4
	v_lshrrev_b32_e32 v6, 15, v6
	v_mul_u32_u24_e32 v7, 0xadc8, v6
	v_sub_u32_e32 v3, v3, v7
	v_mul_lo_u32 v3, v3, s8
	v_mul_u32_u24_e32 v6, 0xd47, v6
	v_xor_b32_e32 v7, 0x7fffffff, v6
	v_sub_u32_e32 v9, 0, v6
	v_cmp_lt_u32_e32 vcc, v3, v6
	v_cndmask_b32_e32 v6, v9, v7, vcc
	v_add_u32_e32 v3, v6, v3
	v_mul_hi_u32 v7, v3, s3
	v_add_u32_e32 v6, -1, v3
	v_cvt_f32_u32_e32 v6, v6
	v_fma_f32 v4, v4, s9, 0
	v_lshrrev_b32_e32 v7, 15, v7
	v_mul_u32_u24_e32 v9, 0xadc8, v7
	v_fma_f32 v6, v6, s9, 0
	v_sub_u32_e32 v3, v3, v9
	v_mul_f32_e32 v6, v6, v6
	v_mul_lo_u32 v3, v3, s8
	v_fmac_f32_e32 v6, v4, v4
	v_mul_f32_e32 v4, 0x4f800000, v6
	v_cmp_gt_f32_e32 vcc, s18, v6
	v_mul_u32_u24_e32 v7, 0xd47, v7
	v_cndmask_b32_e32 v4, v6, v4, vcc
	v_xor_b32_e32 v9, 0x7fffffff, v7
	v_sub_u32_e32 v10, 0, v7
	v_sqrt_f32_e32 v6, v4
	v_cmp_lt_u32_e64 s[0:1], v3, v7
	v_cndmask_b32_e64 v7, v10, v9, s[0:1]
	v_add_u32_e32 v3, v7, v3
	v_mul_hi_u32 v9, v3, s3
	v_add_u32_e32 v10, -1, v6
	v_add_u32_e32 v11, 1, v6
	v_fma_f32 v12, -v10, v6, v4
	v_fma_f32 v13, -v11, v6, v4
	v_cmp_ge_f32_e64 s[0:1], 0, v12
	v_cndmask_b32_e64 v6, v6, v10, s[0:1]
	v_cmp_lt_f32_e64 s[0:1], 0, v13
	v_lshrrev_b32_e32 v9, 15, v9
	v_cndmask_b32_e64 v6, v6, v11, s[0:1]
	v_mul_u32_u24_e32 v11, 0xadc8, v9
	v_add_u32_e32 v7, -1, v3
	v_sub_u32_e32 v3, v3, v11
	v_mul_f32_e32 v10, 0x37800000, v6
	v_mul_lo_u32 v3, v3, s8
	v_cndmask_b32_e32 v6, v6, v10, vcc
	v_cmp_class_f32_e32 vcc, v4, v2
	v_cndmask_b32_e32 v4, v6, v4, vcc
	v_mul_u32_u24_e32 v9, 0xd47, v9
	v_cmp_nge_f32_e32 vcc, 1.0, v4
	v_xor_b32_e32 v10, 0x7fffffff, v9
	v_sub_u32_e32 v11, 0, v9
	v_cndmask_b32_e32 v4, v5, v8, vcc
	v_cmp_lt_u32_e32 vcc, v3, v9
	v_cndmask_b32_e32 v6, v11, v10, vcc
	v_add_u32_e32 v3, v6, v3
	v_add_u32_e32 v6, -1, v3
	v_cvt_f32_u32_e32 v6, v6
	v_cvt_f32_u32_e32 v7, v7
	v_add_f32_e32 v5, 1.0, v4
	v_fma_f32 v6, v6, s9, 0
	v_fma_f32 v7, v7, s9, 0
	v_mul_f32_e32 v6, v6, v6
	v_fmac_f32_e32 v6, v7, v7
	v_mul_f32_e32 v7, 0x4f800000, v6
	v_cmp_gt_f32_e32 vcc, s18, v6
	v_cndmask_b32_e32 v6, v6, v7, vcc
	v_sqrt_f32_e32 v7, v6
	v_add_u32_e32 v8, -1, v7
	v_add_u32_e32 v9, 1, v7
	v_fma_f32 v10, -v8, v7, v6
	v_fma_f32 v11, -v9, v7, v6
	v_cmp_ge_f32_e64 s[0:1], 0, v10
	v_cndmask_b32_e64 v7, v7, v8, s[0:1]
	v_cmp_lt_f32_e64 s[0:1], 0, v11
	v_cndmask_b32_e64 v7, v7, v9, s[0:1]
	v_mul_f32_e32 v8, 0x37800000, v7
	v_cndmask_b32_e32 v7, v7, v8, vcc
	v_cmp_class_f32_e32 vcc, v6, v2
	v_cndmask_b32_e32 v6, v7, v6, vcc
	v_cmp_nge_f32_e32 vcc, 1.0, v6
	v_cndmask_b32_e32 v8, v5, v4, vcc
	s_cbranch_scc1 .LBB22_9
; %bb.10:
	v_add_u32_e32 v2, 0x138800, v1
	v_cmp_ne_u32_e32 vcc, 0, v2
	v_mov_b32_e32 v3, 1
	s_and_saveexec_b64 s[0:1], vcc
	s_cbranch_execz .LBB22_16
; %bb.11:
	v_mov_b32_e32 v3, 0
	v_mov_b32_e32 v6, 1
	;; [unrolled: 1-line block ×3, first 2 shown]
	s_mov_b64 s[8:9], 0xbc8f
	v_mov_b32_e32 v7, 0
	s_mov_b64 s[2:3], 0
	s_brev_b32 s21, -2
	v_mov_b32_e32 v4, v2
	s_branch .LBB22_13
.LBB22_12:                              ;   in Loop: Header=BB22_13 Depth=1
	s_or_b64 exec, exec, s[18:19]
	s_mul_i32 s9, s8, s9
	s_mul_hi_u32 s18, s8, s8
	s_add_i32 s18, s18, s9
	s_add_i32 s18, s18, s9
	s_mul_i32 s19, s8, s8
	s_mul_i32 s9, s18, 3
	s_mul_hi_u32 s22, s19, 3
	s_mul_hi_u32 s8, s18, 3
	s_add_u32 s9, s9, s22
	s_addc_u32 s8, s8, 0
	s_mul_i32 s23, s19, 0x80000001
	s_mul_hi_u32 s22, s19, 0x80000001
	s_add_u32 s9, s23, s9
	s_addc_u32 s9, s22, 0
	s_add_u32 s8, s8, s9
	s_addc_u32 s9, 0, 0
	s_mul_i32 s23, s18, 0x80000001
	s_mul_hi_u32 s22, s18, 0x80000001
	s_add_u32 s8, s23, s8
	s_addc_u32 s9, s22, s9
	s_lshr_b32 s22, s9, 30
	s_lshr_b64 s[8:9], s[8:9], 30
	s_mul_i32 s22, s22, 0x7fffffff
	s_mul_hi_u32 s9, s8, 0x7fffffff
	v_lshrrev_b64 v[9:10], 1, v[4:5]
	s_add_i32 s9, s9, s22
	s_mul_i32 s8, s8, 0x7fffffff
	s_sub_u32 s8, s19, s8
	v_cmp_gt_u64_e32 vcc, 2, v[4:5]
	s_subb_u32 s9, s18, s9
	v_mov_b32_e32 v4, v9
	s_or_b64 s[2:3], vcc, s[2:3]
	v_mov_b32_e32 v5, v10
	s_andn2_b64 exec, exec, s[2:3]
	s_cbranch_execz .LBB22_15
.LBB22_13:                              ; =>This Inner Loop Header: Depth=1
	v_and_b32_e32 v2, 1, v4
	v_cmp_eq_u32_e32 vcc, 1, v2
	s_and_saveexec_b64 s[18:19], vcc
	s_cbranch_execz .LBB22_12
; %bb.14:                               ;   in Loop: Header=BB22_13 Depth=1
	v_mad_u64_u32 v[9:10], s[22:23], s8, v6, 0
	v_mul_lo_u32 v6, s9, v6
	v_mul_lo_u32 v7, s8, v7
	v_mul_hi_u32 v2, v9, 5
	v_add3_u32 v12, v10, v7, v6
	v_mad_u64_u32 v[6:7], s[22:23], v12, 5, v[2:3]
	v_mov_b32_e32 v2, v6
	v_mad_u64_u32 v[10:11], s[22:23], v9, 2, v[2:3]
	v_add_co_u32_e32 v6, vcc, v7, v11
	v_addc_co_u32_e64 v7, s[22:23], 0, 0, vcc
	v_mad_u64_u32 v[6:7], s[22:23], v12, 2, v[6:7]
	v_sub_co_u32_e32 v10, vcc, v9, v6
	v_subb_co_u32_e32 v11, vcc, v12, v7, vcc
	v_lshrrev_b64 v[10:11], 1, v[10:11]
	v_add_co_u32_e32 v2, vcc, v10, v6
	v_addc_co_u32_e32 v10, vcc, v11, v7, vcc
	v_alignbit_b32 v2, v10, v2, 30
	v_mad_u64_u32 v[6:7], s[22:23], v2, s21, 0
	v_lshrrev_b32_e32 v10, 30, v10
	v_mov_b32_e32 v2, v7
	v_mad_u64_u32 v[10:11], s[22:23], v10, s21, v[2:3]
	v_sub_co_u32_e32 v6, vcc, v9, v6
	v_subb_co_u32_e32 v7, vcc, v12, v10, vcc
	s_branch .LBB22_12
.LBB22_15:
	s_or_b64 exec, exec, s[2:3]
	v_add_u32_e32 v2, 0x80000001, v6
	v_min_u32_e32 v2, v2, v6
	v_add_u32_e32 v3, 0x80000001, v2
	v_min_u32_e32 v3, v3, v2
.LBB22_16:
	s_or_b64 exec, exec, s[0:1]
	v_mov_b32_e32 v9, 0
	s_movk_i32 s2, 0x1388
	s_mov_b32 s3, 0xbc8f1391
	s_mov_b32 s8, 0xbc8f
	s_brev_b32 s9, 12
	s_mov_b32 s18, 0xf800000
	v_mov_b32_e32 v2, 0x260
.LBB22_17:                              ; =>This Inner Loop Header: Depth=1
	v_mul_hi_u32 v4, v3, s3
	v_add_f32_e32 v5, 1.0, v9
	s_add_i32 s2, s2, -2
	s_cmp_lg_u32 s2, 0
	v_lshrrev_b32_e32 v4, 15, v4
	v_mul_u32_u24_e32 v6, 0xadc8, v4
	v_sub_u32_e32 v3, v3, v6
	v_mul_lo_u32 v3, v3, s8
	v_mul_u32_u24_e32 v4, 0xd47, v4
	v_xor_b32_e32 v6, 0x7fffffff, v4
	v_sub_u32_e32 v7, 0, v4
	v_cmp_lt_u32_e32 vcc, v3, v4
	v_cndmask_b32_e32 v4, v7, v6, vcc
	v_add_u32_e32 v3, v4, v3
	v_mul_hi_u32 v6, v3, s3
	v_add_u32_e32 v4, -1, v3
	v_cvt_f32_u32_e32 v4, v4
	v_lshrrev_b32_e32 v6, 15, v6
	v_mul_u32_u24_e32 v7, 0xadc8, v6
	v_sub_u32_e32 v3, v3, v7
	v_mul_lo_u32 v3, v3, s8
	v_mul_u32_u24_e32 v6, 0xd47, v6
	v_xor_b32_e32 v7, 0x7fffffff, v6
	v_sub_u32_e32 v10, 0, v6
	v_cmp_lt_u32_e32 vcc, v3, v6
	v_cndmask_b32_e32 v6, v10, v7, vcc
	v_add_u32_e32 v3, v6, v3
	v_mul_hi_u32 v7, v3, s3
	v_add_u32_e32 v6, -1, v3
	v_cvt_f32_u32_e32 v6, v6
	v_fma_f32 v4, v4, s9, 0
	v_lshrrev_b32_e32 v7, 15, v7
	v_mul_u32_u24_e32 v10, 0xadc8, v7
	v_fma_f32 v6, v6, s9, 0
	v_sub_u32_e32 v3, v3, v10
	v_mul_f32_e32 v6, v6, v6
	v_mul_lo_u32 v3, v3, s8
	v_fmac_f32_e32 v6, v4, v4
	v_mul_f32_e32 v4, 0x4f800000, v6
	v_cmp_gt_f32_e32 vcc, s18, v6
	v_mul_u32_u24_e32 v7, 0xd47, v7
	v_cndmask_b32_e32 v4, v6, v4, vcc
	v_xor_b32_e32 v10, 0x7fffffff, v7
	v_sub_u32_e32 v11, 0, v7
	v_sqrt_f32_e32 v6, v4
	v_cmp_lt_u32_e64 s[0:1], v3, v7
	v_cndmask_b32_e64 v7, v11, v10, s[0:1]
	v_add_u32_e32 v3, v7, v3
	v_mul_hi_u32 v10, v3, s3
	v_add_u32_e32 v11, -1, v6
	v_add_u32_e32 v12, 1, v6
	v_fma_f32 v13, -v11, v6, v4
	v_fma_f32 v14, -v12, v6, v4
	v_cmp_ge_f32_e64 s[0:1], 0, v13
	v_cndmask_b32_e64 v6, v6, v11, s[0:1]
	v_cmp_lt_f32_e64 s[0:1], 0, v14
	v_lshrrev_b32_e32 v10, 15, v10
	v_cndmask_b32_e64 v6, v6, v12, s[0:1]
	v_mul_u32_u24_e32 v12, 0xadc8, v10
	v_add_u32_e32 v7, -1, v3
	v_sub_u32_e32 v3, v3, v12
	v_mul_f32_e32 v11, 0x37800000, v6
	v_mul_lo_u32 v3, v3, s8
	v_cndmask_b32_e32 v6, v6, v11, vcc
	v_cmp_class_f32_e32 vcc, v4, v2
	v_cndmask_b32_e32 v4, v6, v4, vcc
	v_mul_u32_u24_e32 v10, 0xd47, v10
	v_cmp_nge_f32_e32 vcc, 1.0, v4
	v_xor_b32_e32 v11, 0x7fffffff, v10
	v_sub_u32_e32 v12, 0, v10
	v_cndmask_b32_e32 v4, v5, v9, vcc
	v_cmp_lt_u32_e32 vcc, v3, v10
	v_cndmask_b32_e32 v6, v12, v11, vcc
	v_add_u32_e32 v3, v6, v3
	v_add_u32_e32 v6, -1, v3
	v_cvt_f32_u32_e32 v6, v6
	v_cvt_f32_u32_e32 v7, v7
	v_add_f32_e32 v5, 1.0, v4
	v_fma_f32 v6, v6, s9, 0
	v_fma_f32 v7, v7, s9, 0
	v_mul_f32_e32 v6, v6, v6
	v_fmac_f32_e32 v6, v7, v7
	v_mul_f32_e32 v7, 0x4f800000, v6
	v_cmp_gt_f32_e32 vcc, s18, v6
	v_cndmask_b32_e32 v6, v6, v7, vcc
	v_sqrt_f32_e32 v7, v6
	v_add_u32_e32 v9, -1, v7
	v_add_u32_e32 v10, 1, v7
	v_fma_f32 v11, -v9, v7, v6
	v_fma_f32 v12, -v10, v7, v6
	v_cmp_ge_f32_e64 s[0:1], 0, v11
	v_cndmask_b32_e64 v7, v7, v9, s[0:1]
	v_cmp_lt_f32_e64 s[0:1], 0, v12
	v_cndmask_b32_e64 v7, v7, v10, s[0:1]
	v_mul_f32_e32 v9, 0x37800000, v7
	v_cndmask_b32_e32 v7, v7, v9, vcc
	v_cmp_class_f32_e32 vcc, v6, v2
	v_cndmask_b32_e32 v6, v7, v6, vcc
	v_cmp_nge_f32_e32 vcc, 1.0, v6
	v_cndmask_b32_e32 v9, v5, v4, vcc
	s_cbranch_scc1 .LBB22_17
; %bb.18:
	v_add_u32_e32 v2, 0x271000, v1
	v_cmp_ne_u32_e32 vcc, 0, v2
	v_mov_b32_e32 v3, 1
	s_and_saveexec_b64 s[0:1], vcc
	s_cbranch_execz .LBB22_24
; %bb.19:
	v_mov_b32_e32 v3, 0
	v_mov_b32_e32 v6, 1
	;; [unrolled: 1-line block ×3, first 2 shown]
	s_mov_b64 s[8:9], 0xbc8f
	v_mov_b32_e32 v7, 0
	s_mov_b64 s[2:3], 0
	s_brev_b32 s21, -2
	v_mov_b32_e32 v4, v2
	s_branch .LBB22_21
.LBB22_20:                              ;   in Loop: Header=BB22_21 Depth=1
	s_or_b64 exec, exec, s[18:19]
	s_mul_i32 s9, s8, s9
	s_mul_hi_u32 s18, s8, s8
	s_add_i32 s18, s18, s9
	s_add_i32 s18, s18, s9
	s_mul_i32 s19, s8, s8
	s_mul_i32 s9, s18, 3
	s_mul_hi_u32 s22, s19, 3
	s_mul_hi_u32 s8, s18, 3
	s_add_u32 s9, s9, s22
	s_addc_u32 s8, s8, 0
	s_mul_i32 s23, s19, 0x80000001
	s_mul_hi_u32 s22, s19, 0x80000001
	s_add_u32 s9, s23, s9
	s_addc_u32 s9, s22, 0
	s_add_u32 s8, s8, s9
	s_addc_u32 s9, 0, 0
	s_mul_i32 s23, s18, 0x80000001
	s_mul_hi_u32 s22, s18, 0x80000001
	s_add_u32 s8, s23, s8
	s_addc_u32 s9, s22, s9
	s_lshr_b32 s22, s9, 30
	s_lshr_b64 s[8:9], s[8:9], 30
	s_mul_i32 s22, s22, 0x7fffffff
	s_mul_hi_u32 s9, s8, 0x7fffffff
	v_lshrrev_b64 v[10:11], 1, v[4:5]
	s_add_i32 s9, s9, s22
	s_mul_i32 s8, s8, 0x7fffffff
	s_sub_u32 s8, s19, s8
	v_cmp_gt_u64_e32 vcc, 2, v[4:5]
	s_subb_u32 s9, s18, s9
	v_mov_b32_e32 v4, v10
	s_or_b64 s[2:3], vcc, s[2:3]
	v_mov_b32_e32 v5, v11
	s_andn2_b64 exec, exec, s[2:3]
	s_cbranch_execz .LBB22_23
.LBB22_21:                              ; =>This Inner Loop Header: Depth=1
	v_and_b32_e32 v2, 1, v4
	v_cmp_eq_u32_e32 vcc, 1, v2
	s_and_saveexec_b64 s[18:19], vcc
	s_cbranch_execz .LBB22_20
; %bb.22:                               ;   in Loop: Header=BB22_21 Depth=1
	v_mad_u64_u32 v[10:11], s[22:23], s8, v6, 0
	v_mul_lo_u32 v6, s9, v6
	v_mul_lo_u32 v7, s8, v7
	v_mul_hi_u32 v2, v10, 5
	v_add3_u32 v13, v11, v7, v6
	v_mad_u64_u32 v[6:7], s[22:23], v13, 5, v[2:3]
	v_mov_b32_e32 v2, v6
	v_mad_u64_u32 v[11:12], s[22:23], v10, 2, v[2:3]
	v_add_co_u32_e32 v6, vcc, v7, v12
	v_addc_co_u32_e64 v7, s[22:23], 0, 0, vcc
	v_mad_u64_u32 v[6:7], s[22:23], v13, 2, v[6:7]
	v_sub_co_u32_e32 v11, vcc, v10, v6
	v_subb_co_u32_e32 v12, vcc, v13, v7, vcc
	v_lshrrev_b64 v[11:12], 1, v[11:12]
	v_add_co_u32_e32 v2, vcc, v11, v6
	v_addc_co_u32_e32 v11, vcc, v12, v7, vcc
	v_alignbit_b32 v2, v11, v2, 30
	v_mad_u64_u32 v[6:7], s[22:23], v2, s21, 0
	v_lshrrev_b32_e32 v11, 30, v11
	v_mov_b32_e32 v2, v7
	v_mad_u64_u32 v[11:12], s[22:23], v11, s21, v[2:3]
	v_sub_co_u32_e32 v6, vcc, v10, v6
	v_subb_co_u32_e32 v7, vcc, v13, v11, vcc
	s_branch .LBB22_20
.LBB22_23:
	s_or_b64 exec, exec, s[2:3]
	v_add_u32_e32 v2, 0x80000001, v6
	v_min_u32_e32 v2, v2, v6
	v_add_u32_e32 v3, 0x80000001, v2
	v_min_u32_e32 v3, v3, v2
.LBB22_24:
	s_or_b64 exec, exec, s[0:1]
	v_mov_b32_e32 v7, 0
	s_movk_i32 s2, 0x1388
	s_mov_b32 s3, 0xbc8f1391
	s_mov_b32 s8, 0xbc8f
	s_brev_b32 s9, 12
	s_mov_b32 s18, 0xf800000
	v_mov_b32_e32 v2, 0x260
.LBB22_25:                              ; =>This Inner Loop Header: Depth=1
	v_mul_hi_u32 v4, v3, s3
	v_add_f32_e32 v5, 1.0, v7
	s_add_i32 s2, s2, -2
	s_cmp_lg_u32 s2, 0
	v_lshrrev_b32_e32 v4, 15, v4
	v_mul_u32_u24_e32 v6, 0xadc8, v4
	v_sub_u32_e32 v3, v3, v6
	v_mul_lo_u32 v3, v3, s8
	v_mul_u32_u24_e32 v4, 0xd47, v4
	v_xor_b32_e32 v6, 0x7fffffff, v4
	v_sub_u32_e32 v10, 0, v4
	v_cmp_lt_u32_e32 vcc, v3, v4
	v_cndmask_b32_e32 v4, v10, v6, vcc
	v_add_u32_e32 v3, v4, v3
	v_mul_hi_u32 v6, v3, s3
	v_add_u32_e32 v4, -1, v3
	v_cvt_f32_u32_e32 v4, v4
	v_lshrrev_b32_e32 v6, 15, v6
	v_mul_u32_u24_e32 v10, 0xadc8, v6
	v_sub_u32_e32 v3, v3, v10
	v_mul_lo_u32 v3, v3, s8
	v_mul_u32_u24_e32 v6, 0xd47, v6
	v_xor_b32_e32 v10, 0x7fffffff, v6
	v_sub_u32_e32 v11, 0, v6
	v_cmp_lt_u32_e32 vcc, v3, v6
	v_cndmask_b32_e32 v6, v11, v10, vcc
	v_add_u32_e32 v3, v6, v3
	v_mul_hi_u32 v10, v3, s3
	v_add_u32_e32 v6, -1, v3
	v_cvt_f32_u32_e32 v6, v6
	v_fma_f32 v4, v4, s9, 0
	v_lshrrev_b32_e32 v10, 15, v10
	v_mul_u32_u24_e32 v11, 0xadc8, v10
	v_fma_f32 v6, v6, s9, 0
	v_sub_u32_e32 v3, v3, v11
	v_mul_f32_e32 v6, v6, v6
	v_mul_lo_u32 v3, v3, s8
	v_fmac_f32_e32 v6, v4, v4
	v_mul_f32_e32 v4, 0x4f800000, v6
	v_cmp_gt_f32_e32 vcc, s18, v6
	v_mul_u32_u24_e32 v10, 0xd47, v10
	v_cndmask_b32_e32 v4, v6, v4, vcc
	v_xor_b32_e32 v11, 0x7fffffff, v10
	v_sub_u32_e32 v12, 0, v10
	v_sqrt_f32_e32 v6, v4
	v_cmp_lt_u32_e64 s[0:1], v3, v10
	v_cndmask_b32_e64 v10, v12, v11, s[0:1]
	v_add_u32_e32 v3, v10, v3
	v_mul_hi_u32 v11, v3, s3
	v_add_u32_e32 v12, -1, v6
	v_add_u32_e32 v13, 1, v6
	v_fma_f32 v14, -v12, v6, v4
	v_fma_f32 v15, -v13, v6, v4
	v_cmp_ge_f32_e64 s[0:1], 0, v14
	v_cndmask_b32_e64 v6, v6, v12, s[0:1]
	v_cmp_lt_f32_e64 s[0:1], 0, v15
	v_lshrrev_b32_e32 v11, 15, v11
	v_cndmask_b32_e64 v6, v6, v13, s[0:1]
	v_mul_u32_u24_e32 v13, 0xadc8, v11
	v_add_u32_e32 v10, -1, v3
	v_sub_u32_e32 v3, v3, v13
	v_mul_f32_e32 v12, 0x37800000, v6
	v_mul_lo_u32 v3, v3, s8
	v_cndmask_b32_e32 v6, v6, v12, vcc
	v_cmp_class_f32_e32 vcc, v4, v2
	v_cndmask_b32_e32 v4, v6, v4, vcc
	v_mul_u32_u24_e32 v11, 0xd47, v11
	v_cmp_nge_f32_e32 vcc, 1.0, v4
	v_xor_b32_e32 v12, 0x7fffffff, v11
	v_sub_u32_e32 v13, 0, v11
	v_cndmask_b32_e32 v4, v5, v7, vcc
	v_cmp_lt_u32_e32 vcc, v3, v11
	v_cndmask_b32_e32 v6, v13, v12, vcc
	v_add_u32_e32 v3, v6, v3
	v_add_u32_e32 v6, -1, v3
	v_cvt_f32_u32_e32 v6, v6
	v_cvt_f32_u32_e32 v10, v10
	v_add_f32_e32 v5, 1.0, v4
	v_fma_f32 v6, v6, s9, 0
	v_fma_f32 v10, v10, s9, 0
	v_mul_f32_e32 v6, v6, v6
	v_fmac_f32_e32 v6, v10, v10
	v_mul_f32_e32 v7, 0x4f800000, v6
	v_cmp_gt_f32_e32 vcc, s18, v6
	v_cndmask_b32_e32 v6, v6, v7, vcc
	v_sqrt_f32_e32 v7, v6
	v_add_u32_e32 v10, -1, v7
	v_add_u32_e32 v11, 1, v7
	v_fma_f32 v12, -v10, v7, v6
	v_fma_f32 v13, -v11, v7, v6
	v_cmp_ge_f32_e64 s[0:1], 0, v12
	v_cndmask_b32_e64 v7, v7, v10, s[0:1]
	v_cmp_lt_f32_e64 s[0:1], 0, v13
	v_cndmask_b32_e64 v7, v7, v11, s[0:1]
	v_mul_f32_e32 v10, 0x37800000, v7
	v_cndmask_b32_e32 v7, v7, v10, vcc
	v_cmp_class_f32_e32 vcc, v6, v2
	v_cndmask_b32_e32 v6, v7, v6, vcc
	v_cmp_nge_f32_e32 vcc, 1.0, v6
	v_cndmask_b32_e32 v7, v5, v4, vcc
	s_cbranch_scc1 .LBB22_25
; %bb.26:
	v_add_u32_e32 v1, 0x3a9800, v1
	v_cmp_ne_u32_e32 vcc, 0, v1
	v_mov_b32_e32 v3, 1
	s_and_saveexec_b64 s[0:1], vcc
	s_cbranch_execz .LBB22_32
; %bb.27:
	v_mov_b32_e32 v2, 0
	v_mov_b32_e32 v5, 1
	;; [unrolled: 1-line block ×3, first 2 shown]
	s_mov_b64 s[8:9], 0xbc8f
	v_mov_b32_e32 v6, 0
	s_mov_b64 s[2:3], 0
	s_brev_b32 s21, -2
	v_mov_b32_e32 v3, v1
	s_branch .LBB22_29
.LBB22_28:                              ;   in Loop: Header=BB22_29 Depth=1
	s_or_b64 exec, exec, s[18:19]
	s_mul_i32 s9, s8, s9
	s_mul_hi_u32 s18, s8, s8
	s_add_i32 s18, s18, s9
	s_add_i32 s18, s18, s9
	s_mul_i32 s19, s8, s8
	s_mul_i32 s9, s18, 3
	s_mul_hi_u32 s22, s19, 3
	s_mul_hi_u32 s8, s18, 3
	s_add_u32 s9, s9, s22
	s_addc_u32 s8, s8, 0
	s_mul_i32 s23, s19, 0x80000001
	s_mul_hi_u32 s22, s19, 0x80000001
	s_add_u32 s9, s23, s9
	s_addc_u32 s9, s22, 0
	s_add_u32 s8, s8, s9
	s_addc_u32 s9, 0, 0
	s_mul_i32 s23, s18, 0x80000001
	s_mul_hi_u32 s22, s18, 0x80000001
	s_add_u32 s8, s23, s8
	s_addc_u32 s9, s22, s9
	s_lshr_b32 s22, s9, 30
	s_lshr_b64 s[8:9], s[8:9], 30
	s_mul_i32 s22, s22, 0x7fffffff
	s_mul_hi_u32 s9, s8, 0x7fffffff
	v_lshrrev_b64 v[10:11], 1, v[3:4]
	s_add_i32 s9, s9, s22
	s_mul_i32 s8, s8, 0x7fffffff
	s_sub_u32 s8, s19, s8
	v_cmp_gt_u64_e32 vcc, 2, v[3:4]
	s_subb_u32 s9, s18, s9
	v_mov_b32_e32 v3, v10
	s_or_b64 s[2:3], vcc, s[2:3]
	v_mov_b32_e32 v4, v11
	s_andn2_b64 exec, exec, s[2:3]
	s_cbranch_execz .LBB22_31
.LBB22_29:                              ; =>This Inner Loop Header: Depth=1
	v_and_b32_e32 v1, 1, v3
	v_cmp_eq_u32_e32 vcc, 1, v1
	s_and_saveexec_b64 s[18:19], vcc
	s_cbranch_execz .LBB22_28
; %bb.30:                               ;   in Loop: Header=BB22_29 Depth=1
	v_mad_u64_u32 v[10:11], s[22:23], s8, v5, 0
	v_mul_lo_u32 v5, s9, v5
	v_mul_lo_u32 v6, s8, v6
	v_mul_hi_u32 v1, v10, 5
	v_add3_u32 v13, v11, v6, v5
	v_mad_u64_u32 v[5:6], s[22:23], v13, 5, v[1:2]
	v_mov_b32_e32 v1, v5
	v_mad_u64_u32 v[11:12], s[22:23], v10, 2, v[1:2]
	v_add_co_u32_e32 v5, vcc, v6, v12
	v_addc_co_u32_e64 v6, s[22:23], 0, 0, vcc
	v_mad_u64_u32 v[5:6], s[22:23], v13, 2, v[5:6]
	v_sub_co_u32_e32 v11, vcc, v10, v5
	v_subb_co_u32_e32 v12, vcc, v13, v6, vcc
	v_lshrrev_b64 v[11:12], 1, v[11:12]
	v_add_co_u32_e32 v1, vcc, v11, v5
	v_addc_co_u32_e32 v11, vcc, v12, v6, vcc
	v_alignbit_b32 v1, v11, v1, 30
	v_mad_u64_u32 v[5:6], s[22:23], v1, s21, 0
	v_lshrrev_b32_e32 v11, 30, v11
	v_mov_b32_e32 v1, v6
	v_mad_u64_u32 v[11:12], s[22:23], v11, s21, v[1:2]
	v_sub_co_u32_e32 v5, vcc, v10, v5
	v_subb_co_u32_e32 v6, vcc, v13, v11, vcc
	s_branch .LBB22_28
.LBB22_31:
	s_or_b64 exec, exec, s[2:3]
	v_add_u32_e32 v1, 0x80000001, v5
	v_min_u32_e32 v1, v1, v5
	v_add_u32_e32 v2, 0x80000001, v1
	v_min_u32_e32 v3, v2, v1
.LBB22_32:
	s_or_b64 exec, exec, s[0:1]
	v_mov_b32_e32 v1, 0
	s_movk_i32 s2, 0x1388
	s_mov_b32 s3, 0xbc8f1391
	s_mov_b32 s8, 0xbc8f
	s_brev_b32 s9, 12
	s_mov_b32 s18, 0xf800000
	v_mov_b32_e32 v2, 0x260
.LBB22_33:                              ; =>This Inner Loop Header: Depth=1
	v_mul_hi_u32 v4, v3, s3
	v_add_f32_e32 v5, 1.0, v1
	s_add_i32 s2, s2, -2
	s_cmp_lg_u32 s2, 0
	v_lshrrev_b32_e32 v4, 15, v4
	v_mul_u32_u24_e32 v6, 0xadc8, v4
	v_sub_u32_e32 v3, v3, v6
	v_mul_lo_u32 v3, v3, s8
	v_mul_u32_u24_e32 v4, 0xd47, v4
	v_xor_b32_e32 v6, 0x7fffffff, v4
	v_sub_u32_e32 v10, 0, v4
	v_cmp_lt_u32_e32 vcc, v3, v4
	v_cndmask_b32_e32 v4, v10, v6, vcc
	v_add_u32_e32 v3, v4, v3
	v_mul_hi_u32 v6, v3, s3
	v_add_u32_e32 v4, -1, v3
	v_cvt_f32_u32_e32 v4, v4
	v_lshrrev_b32_e32 v6, 15, v6
	v_mul_u32_u24_e32 v10, 0xadc8, v6
	v_sub_u32_e32 v3, v3, v10
	v_mul_lo_u32 v3, v3, s8
	v_mul_u32_u24_e32 v6, 0xd47, v6
	v_xor_b32_e32 v10, 0x7fffffff, v6
	v_sub_u32_e32 v11, 0, v6
	v_cmp_lt_u32_e32 vcc, v3, v6
	v_cndmask_b32_e32 v6, v11, v10, vcc
	v_add_u32_e32 v3, v6, v3
	v_mul_hi_u32 v10, v3, s3
	v_add_u32_e32 v6, -1, v3
	v_cvt_f32_u32_e32 v6, v6
	v_fma_f32 v4, v4, s9, 0
	v_lshrrev_b32_e32 v10, 15, v10
	v_mul_u32_u24_e32 v11, 0xadc8, v10
	v_fma_f32 v6, v6, s9, 0
	v_sub_u32_e32 v3, v3, v11
	v_mul_f32_e32 v6, v6, v6
	v_mul_lo_u32 v3, v3, s8
	v_fmac_f32_e32 v6, v4, v4
	v_mul_f32_e32 v4, 0x4f800000, v6
	v_cmp_gt_f32_e32 vcc, s18, v6
	v_mul_u32_u24_e32 v10, 0xd47, v10
	v_cndmask_b32_e32 v4, v6, v4, vcc
	v_xor_b32_e32 v11, 0x7fffffff, v10
	v_sub_u32_e32 v12, 0, v10
	v_sqrt_f32_e32 v6, v4
	v_cmp_lt_u32_e64 s[0:1], v3, v10
	v_cndmask_b32_e64 v10, v12, v11, s[0:1]
	v_add_u32_e32 v3, v10, v3
	v_mul_hi_u32 v11, v3, s3
	v_add_u32_e32 v12, -1, v6
	v_add_u32_e32 v13, 1, v6
	v_fma_f32 v14, -v12, v6, v4
	v_fma_f32 v15, -v13, v6, v4
	v_cmp_ge_f32_e64 s[0:1], 0, v14
	v_cndmask_b32_e64 v6, v6, v12, s[0:1]
	v_cmp_lt_f32_e64 s[0:1], 0, v15
	v_lshrrev_b32_e32 v11, 15, v11
	v_cndmask_b32_e64 v6, v6, v13, s[0:1]
	v_mul_u32_u24_e32 v13, 0xadc8, v11
	v_add_u32_e32 v10, -1, v3
	v_sub_u32_e32 v3, v3, v13
	v_mul_f32_e32 v12, 0x37800000, v6
	v_mul_lo_u32 v3, v3, s8
	v_cndmask_b32_e32 v6, v6, v12, vcc
	v_cmp_class_f32_e32 vcc, v4, v2
	v_cndmask_b32_e32 v4, v6, v4, vcc
	v_mul_u32_u24_e32 v11, 0xd47, v11
	v_cmp_nge_f32_e32 vcc, 1.0, v4
	v_xor_b32_e32 v12, 0x7fffffff, v11
	v_sub_u32_e32 v13, 0, v11
	v_cndmask_b32_e32 v1, v5, v1, vcc
	v_cmp_lt_u32_e32 vcc, v3, v11
	v_cndmask_b32_e32 v5, v13, v12, vcc
	v_add_u32_e32 v3, v5, v3
	v_add_u32_e32 v5, -1, v3
	v_cvt_f32_u32_e32 v5, v5
	v_cvt_f32_u32_e32 v10, v10
	v_add_f32_e32 v4, 1.0, v1
	v_fma_f32 v5, v5, s9, 0
	v_fma_f32 v10, v10, s9, 0
	v_mul_f32_e32 v5, v5, v5
	v_fmac_f32_e32 v5, v10, v10
	v_mul_f32_e32 v6, 0x4f800000, v5
	v_cmp_gt_f32_e32 vcc, s18, v5
	v_cndmask_b32_e32 v5, v5, v6, vcc
	v_sqrt_f32_e32 v6, v5
	v_add_u32_e32 v10, -1, v6
	v_add_u32_e32 v11, 1, v6
	v_fma_f32 v12, -v10, v6, v5
	v_fma_f32 v13, -v11, v6, v5
	v_cmp_ge_f32_e64 s[0:1], 0, v12
	v_cndmask_b32_e64 v6, v6, v10, s[0:1]
	v_cmp_lt_f32_e64 s[0:1], 0, v13
	v_cndmask_b32_e64 v6, v6, v11, s[0:1]
	v_mul_f32_e32 v10, 0x37800000, v6
	v_cndmask_b32_e32 v6, v6, v10, vcc
	v_cmp_class_f32_e32 vcc, v5, v2
	v_cndmask_b32_e32 v5, v6, v5, vcc
	v_cmp_nge_f32_e32 vcc, 1.0, v5
	v_cndmask_b32_e32 v1, v4, v1, vcc
	s_cbranch_scc1 .LBB22_33
; %bb.34:
	v_mul_f32_e32 v2, 4.0, v7
	s_mov_b32 s18, 0x459c4000
	v_div_scale_f32 v3, s[0:1], s18, s18, v2
	v_mul_f32_e32 v4, 4.0, v9
	v_div_scale_f32 v6, vcc, v2, s18, v2
	v_div_scale_f32 v5, s[0:1], s18, s18, v4
	v_mul_f32_e32 v7, 4.0, v8
	v_div_scale_f32 v8, s[0:1], v4, s18, v4
	v_div_scale_f32 v9, s[2:3], s18, s18, v7
	;; [unrolled: 1-line block ×3, first 2 shown]
	v_mul_f32_e32 v1, 4.0, v1
	v_rcp_f32_e32 v10, v3
	v_fma_f32 v13, -v3, v10, 1.0
	v_fmac_f32_e32 v10, v13, v10
	v_mul_f32_e32 v13, v6, v10
	v_rcp_f32_e32 v11, v5
	v_fma_f32 v15, -v3, v13, v6
	v_fmac_f32_e32 v13, v15, v10
	v_fma_f32 v3, -v3, v13, v6
	v_div_scale_f32 v6, s[8:9], s18, s18, v1
	v_fma_f32 v14, -v5, v11, 1.0
	v_fmac_f32_e32 v11, v14, v11
	v_div_fmas_f32 v3, v3, v10, v13
	v_mul_f32_e32 v10, v8, v11
	v_fma_f32 v13, -v5, v10, v8
	v_fmac_f32_e32 v10, v13, v11
	v_div_scale_f32 v13, s[8:9], v1, s18, v1
	v_rcp_f32_e32 v14, v9
	v_fma_f32 v5, -v5, v10, v8
	s_mov_b64 vcc, s[0:1]
	v_div_fmas_f32 v5, v5, v11, v10
	v_fma_f32 v8, -v9, v14, 1.0
	v_fmac_f32_e32 v14, v8, v14
	v_mul_f32_e32 v8, v12, v14
	v_fma_f32 v10, -v9, v8, v12
	v_fmac_f32_e32 v8, v10, v14
	v_rcp_f32_e32 v10, v6
	v_fma_f32 v9, -v9, v8, v12
	s_mov_b64 vcc, s[2:3]
	v_div_fmas_f32 v8, v9, v14, v8
	v_fma_f32 v9, -v6, v10, 1.0
	v_fmac_f32_e32 v10, v9, v10
	v_mul_f32_e32 v9, v13, v10
	v_fma_f32 v11, -v6, v9, v13
	v_fmac_f32_e32 v9, v11, v10
	v_fma_f32 v6, -v6, v9, v13
	s_mov_b64 vcc, s[8:9]
	v_div_fmas_f32 v6, v6, v10, v9
	v_div_fixup_f32 v2, v3, s18, v2
	v_div_fixup_f32 v3, v5, s18, v4
	;; [unrolled: 1-line block ×3, first 2 shown]
	v_add_f32_e32 v3, v4, v3
	v_add_f32_e32 v2, v3, v2
	v_div_fixup_f32 v1, v6, s18, v1
	v_add_f32_e32 v1, v2, v1
	v_mbcnt_lo_u32_b32 v2, -1, 0
	v_mbcnt_hi_u32_b32 v2, -1, v2
	v_add_f32_dpp v1, v1, v1 quad_perm:[1,0,3,2] row_mask:0xf bank_mask:0xf bound_ctrl:1
	v_lshlrev_b32_e32 v3, 2, v2
	v_or_b32_e32 v4, 0xfc, v3
	v_add_f32_dpp v1, v1, v1 quad_perm:[2,3,0,1] row_mask:0xf bank_mask:0xf bound_ctrl:1
	v_cmp_eq_u32_e32 vcc, 0, v2
	s_nop 0
	v_add_f32_dpp v1, v1, v1 row_ror:4 row_mask:0xf bank_mask:0xf bound_ctrl:1
	s_nop 1
	v_add_f32_dpp v1, v1, v1 row_ror:8 row_mask:0xf bank_mask:0xf bound_ctrl:1
	s_nop 1
	v_add_f32_dpp v1, v1, v1 row_bcast:15 row_mask:0xf bank_mask:0xf bound_ctrl:1
	s_nop 1
	v_add_f32_dpp v1, v1, v1 row_bcast:31 row_mask:0xf bank_mask:0xf bound_ctrl:1
	ds_bpermute_b32 v1, v4, v1
	s_and_saveexec_b64 s[0:1], vcc
	s_cbranch_execz .LBB22_36
; %bb.35:
	v_lshrrev_b32_e32 v4, 4, v0
	v_and_b32_e32 v4, 12, v4
	s_waitcnt lgkmcnt(0)
	ds_write_b32 v4, v1
.LBB22_36:
	s_or_b64 exec, exec, s[0:1]
	v_cmp_gt_u32_e32 vcc, 64, v0
	s_waitcnt lgkmcnt(0)
	s_barrier
	s_and_saveexec_b64 s[0:1], vcc
	s_cbranch_execz .LBB22_38
; %bb.37:
	v_and_b32_e32 v1, 3, v2
	v_lshlrev_b32_e32 v4, 2, v1
	ds_read_b32 v4, v4
	v_cmp_ne_u32_e32 vcc, 3, v1
	v_addc_co_u32_e32 v1, vcc, 0, v2, vcc
	v_lshlrev_b32_e32 v1, 2, v1
	s_waitcnt lgkmcnt(0)
	ds_bpermute_b32 v1, v1, v4
	v_or_b32_e32 v2, 8, v3
	s_waitcnt lgkmcnt(0)
	v_add_f32_e32 v1, v4, v1
	ds_bpermute_b32 v2, v2, v1
	s_waitcnt lgkmcnt(0)
	v_add_f32_e32 v1, v1, v2
.LBB22_38:
	s_or_b64 exec, exec, s[0:1]
	s_load_dword s26, s[4:5], 0x30
	s_branch .LBB22_84
.LBB22_39:
	s_sub_i32 s27, s10, s20
	v_mov_b32_e32 v7, 0
	v_cmp_gt_u32_e32 vcc, s27, v0
	v_mov_b32_e32 v8, v7
	v_mov_b32_e32 v9, v7
	;; [unrolled: 1-line block ×3, first 2 shown]
	s_and_saveexec_b64 s[2:3], vcc
	s_cbranch_execz .LBB22_49
; %bb.40:
	v_add_u32_e32 v1, s24, v0
	s_movk_i32 s0, 0x1388
	v_mul_lo_u32 v1, v1, s0
	v_mov_b32_e32 v3, 1
	v_cmp_ne_u32_e32 vcc, 0, v1
	s_and_saveexec_b64 s[0:1], vcc
	s_cbranch_execz .LBB22_46
; %bb.41:
	v_mov_b32_e32 v2, 0
	v_mov_b32_e32 v5, 1
	;; [unrolled: 1-line block ×3, first 2 shown]
	s_mov_b64 s[8:9], 0xbc8f
	v_mov_b32_e32 v6, 0
	s_mov_b64 s[4:5], 0
	s_brev_b32 s20, -2
	v_mov_b32_e32 v3, v1
	s_branch .LBB22_43
.LBB22_42:                              ;   in Loop: Header=BB22_43 Depth=1
	s_or_b64 exec, exec, s[18:19]
	s_mul_i32 s9, s8, s9
	s_mul_hi_u32 s18, s8, s8
	s_add_i32 s18, s18, s9
	s_add_i32 s18, s18, s9
	s_mul_i32 s19, s8, s8
	s_mul_i32 s9, s18, 3
	s_mul_hi_u32 s21, s19, 3
	s_mul_hi_u32 s8, s18, 3
	s_add_u32 s9, s9, s21
	s_addc_u32 s8, s8, 0
	s_mul_i32 s22, s19, 0x80000001
	s_mul_hi_u32 s21, s19, 0x80000001
	s_add_u32 s9, s22, s9
	s_addc_u32 s9, s21, 0
	s_add_u32 s8, s8, s9
	s_addc_u32 s9, 0, 0
	s_mul_i32 s22, s18, 0x80000001
	s_mul_hi_u32 s21, s18, 0x80000001
	s_add_u32 s8, s22, s8
	s_addc_u32 s9, s21, s9
	s_lshr_b32 s21, s9, 30
	s_lshr_b64 s[8:9], s[8:9], 30
	s_mul_i32 s21, s21, 0x7fffffff
	s_mul_hi_u32 s9, s8, 0x7fffffff
	v_lshrrev_b64 v[7:8], 1, v[3:4]
	s_add_i32 s9, s9, s21
	s_mul_i32 s8, s8, 0x7fffffff
	s_sub_u32 s8, s19, s8
	v_cmp_gt_u64_e32 vcc, 2, v[3:4]
	s_subb_u32 s9, s18, s9
	v_mov_b32_e32 v3, v7
	s_or_b64 s[4:5], vcc, s[4:5]
	v_mov_b32_e32 v4, v8
	s_andn2_b64 exec, exec, s[4:5]
	s_cbranch_execz .LBB22_45
.LBB22_43:                              ; =>This Inner Loop Header: Depth=1
	v_and_b32_e32 v1, 1, v3
	v_cmp_eq_u32_e32 vcc, 1, v1
	s_and_saveexec_b64 s[18:19], vcc
	s_cbranch_execz .LBB22_42
; %bb.44:                               ;   in Loop: Header=BB22_43 Depth=1
	v_mad_u64_u32 v[7:8], s[22:23], s8, v5, 0
	v_mul_lo_u32 v5, s9, v5
	v_mul_lo_u32 v6, s8, v6
	v_mul_hi_u32 v1, v7, 5
	v_add3_u32 v10, v8, v6, v5
	v_mad_u64_u32 v[5:6], s[22:23], v10, 5, v[1:2]
	v_mov_b32_e32 v1, v5
	v_mad_u64_u32 v[8:9], s[22:23], v7, 2, v[1:2]
	v_add_co_u32_e32 v5, vcc, v6, v9
	v_addc_co_u32_e64 v6, s[22:23], 0, 0, vcc
	v_mad_u64_u32 v[5:6], s[22:23], v10, 2, v[5:6]
	v_sub_co_u32_e32 v8, vcc, v7, v5
	v_subb_co_u32_e32 v9, vcc, v10, v6, vcc
	v_lshrrev_b64 v[8:9], 1, v[8:9]
	v_add_co_u32_e32 v1, vcc, v8, v5
	v_addc_co_u32_e32 v8, vcc, v9, v6, vcc
	v_alignbit_b32 v1, v8, v1, 30
	v_mad_u64_u32 v[5:6], s[22:23], v1, s20, 0
	v_lshrrev_b32_e32 v8, 30, v8
	v_mov_b32_e32 v1, v6
	v_mad_u64_u32 v[8:9], s[22:23], v8, s20, v[1:2]
	v_sub_co_u32_e32 v5, vcc, v7, v5
	v_subb_co_u32_e32 v6, vcc, v10, v8, vcc
	s_branch .LBB22_42
.LBB22_45:
	s_or_b64 exec, exec, s[4:5]
	v_add_u32_e32 v1, 0x80000001, v5
	v_min_u32_e32 v1, v1, v5
	v_add_u32_e32 v2, 0x80000001, v1
	v_min_u32_e32 v3, v2, v1
.LBB22_46:
	s_or_b64 exec, exec, s[0:1]
	v_mov_b32_e32 v2, 0
	s_movk_i32 s4, 0x1388
	s_mov_b32 s5, 0xbc8f1391
	s_mov_b32 s8, 0xbc8f
	s_brev_b32 s9, 12
	s_mov_b32 s18, 0xf800000
	v_mov_b32_e32 v1, 0x260
.LBB22_47:                              ; =>This Inner Loop Header: Depth=1
	v_mul_hi_u32 v4, v3, s5
	v_add_f32_e32 v5, 1.0, v2
	s_add_i32 s4, s4, -2
	s_cmp_lg_u32 s4, 0
	v_lshrrev_b32_e32 v4, 15, v4
	v_mul_u32_u24_e32 v6, 0xadc8, v4
	v_sub_u32_e32 v3, v3, v6
	v_mul_lo_u32 v3, v3, s8
	v_mul_u32_u24_e32 v4, 0xd47, v4
	v_xor_b32_e32 v6, 0x7fffffff, v4
	v_sub_u32_e32 v7, 0, v4
	v_cmp_lt_u32_e32 vcc, v3, v4
	v_cndmask_b32_e32 v4, v7, v6, vcc
	v_add_u32_e32 v3, v4, v3
	v_mul_hi_u32 v6, v3, s5
	v_add_u32_e32 v4, -1, v3
	v_cvt_f32_u32_e32 v4, v4
	v_lshrrev_b32_e32 v6, 15, v6
	v_mul_u32_u24_e32 v7, 0xadc8, v6
	v_sub_u32_e32 v3, v3, v7
	v_mul_lo_u32 v3, v3, s8
	v_mul_u32_u24_e32 v6, 0xd47, v6
	v_xor_b32_e32 v7, 0x7fffffff, v6
	v_sub_u32_e32 v8, 0, v6
	v_cmp_lt_u32_e32 vcc, v3, v6
	v_cndmask_b32_e32 v6, v8, v7, vcc
	v_add_u32_e32 v3, v6, v3
	v_mul_hi_u32 v7, v3, s5
	v_add_u32_e32 v6, -1, v3
	v_cvt_f32_u32_e32 v6, v6
	v_fma_f32 v4, v4, s9, 0
	v_lshrrev_b32_e32 v7, 15, v7
	v_mul_u32_u24_e32 v8, 0xadc8, v7
	v_fma_f32 v6, v6, s9, 0
	v_sub_u32_e32 v3, v3, v8
	v_mul_f32_e32 v6, v6, v6
	v_mul_lo_u32 v3, v3, s8
	v_fmac_f32_e32 v6, v4, v4
	v_mul_f32_e32 v4, 0x4f800000, v6
	v_cmp_gt_f32_e32 vcc, s18, v6
	v_mul_u32_u24_e32 v7, 0xd47, v7
	v_cndmask_b32_e32 v4, v6, v4, vcc
	v_xor_b32_e32 v8, 0x7fffffff, v7
	v_sub_u32_e32 v9, 0, v7
	v_sqrt_f32_e32 v6, v4
	v_cmp_lt_u32_e64 s[0:1], v3, v7
	v_cndmask_b32_e64 v7, v9, v8, s[0:1]
	v_add_u32_e32 v3, v7, v3
	v_mul_hi_u32 v8, v3, s5
	v_add_u32_e32 v9, -1, v6
	v_add_u32_e32 v10, 1, v6
	v_fma_f32 v11, -v9, v6, v4
	v_fma_f32 v12, -v10, v6, v4
	v_cmp_ge_f32_e64 s[0:1], 0, v11
	v_cndmask_b32_e64 v6, v6, v9, s[0:1]
	v_cmp_lt_f32_e64 s[0:1], 0, v12
	v_lshrrev_b32_e32 v8, 15, v8
	v_cndmask_b32_e64 v6, v6, v10, s[0:1]
	v_mul_u32_u24_e32 v10, 0xadc8, v8
	v_add_u32_e32 v7, -1, v3
	v_sub_u32_e32 v3, v3, v10
	v_mul_f32_e32 v9, 0x37800000, v6
	v_mul_lo_u32 v3, v3, s8
	v_cndmask_b32_e32 v6, v6, v9, vcc
	v_cmp_class_f32_e32 vcc, v4, v1
	v_cndmask_b32_e32 v4, v6, v4, vcc
	v_mul_u32_u24_e32 v8, 0xd47, v8
	v_cmp_nge_f32_e32 vcc, 1.0, v4
	v_xor_b32_e32 v9, 0x7fffffff, v8
	v_sub_u32_e32 v10, 0, v8
	v_cndmask_b32_e32 v2, v5, v2, vcc
	v_cmp_lt_u32_e32 vcc, v3, v8
	v_cndmask_b32_e32 v5, v10, v9, vcc
	v_add_u32_e32 v3, v5, v3
	v_add_u32_e32 v5, -1, v3
	v_cvt_f32_u32_e32 v5, v5
	v_cvt_f32_u32_e32 v7, v7
	v_add_f32_e32 v4, 1.0, v2
	v_fma_f32 v5, v5, s9, 0
	v_fma_f32 v7, v7, s9, 0
	v_mul_f32_e32 v5, v5, v5
	v_fmac_f32_e32 v5, v7, v7
	v_mul_f32_e32 v6, 0x4f800000, v5
	v_cmp_gt_f32_e32 vcc, s18, v5
	v_cndmask_b32_e32 v5, v5, v6, vcc
	v_sqrt_f32_e32 v6, v5
	v_add_u32_e32 v7, -1, v6
	v_add_u32_e32 v8, 1, v6
	v_fma_f32 v9, -v7, v6, v5
	v_fma_f32 v10, -v8, v6, v5
	v_cmp_ge_f32_e64 s[0:1], 0, v9
	v_cndmask_b32_e64 v6, v6, v7, s[0:1]
	v_cmp_lt_f32_e64 s[0:1], 0, v10
	v_cndmask_b32_e64 v6, v6, v8, s[0:1]
	v_mul_f32_e32 v7, 0x37800000, v6
	v_cndmask_b32_e32 v6, v6, v7, vcc
	v_cmp_class_f32_e32 vcc, v5, v1
	v_cndmask_b32_e32 v5, v6, v5, vcc
	v_cmp_nge_f32_e32 vcc, 1.0, v5
	v_cndmask_b32_e32 v2, v4, v2, vcc
	s_cbranch_scc1 .LBB22_47
; %bb.48:
	v_mul_f32_e32 v1, 4.0, v2
	s_mov_b32 s4, 0x459c4000
	v_div_scale_f32 v2, s[0:1], s4, s4, v1
	v_div_scale_f32 v3, vcc, v1, s4, v1
	v_mov_b32_e32 v8, 0
	v_mov_b32_e32 v9, v8
	;; [unrolled: 1-line block ×3, first 2 shown]
	v_rcp_f32_e32 v4, v2
	v_fma_f32 v5, -v2, v4, 1.0
	v_fmac_f32_e32 v4, v5, v4
	v_mul_f32_e32 v5, v3, v4
	v_fma_f32 v6, -v2, v5, v3
	v_fmac_f32_e32 v5, v6, v4
	v_fma_f32 v2, -v2, v5, v3
	v_div_fmas_f32 v2, v2, v4, v5
	v_div_fixup_f32 v7, v2, s4, v1
.LBB22_49:
	s_or_b64 exec, exec, s[2:3]
	v_or_b32_e32 v1, 0x100, v0
	v_cmp_gt_u32_e64 s[0:1], s27, v1
	s_and_saveexec_b64 s[4:5], s[0:1]
	s_cbranch_execz .LBB22_59
; %bb.50:
	v_add_u32_e32 v1, s24, v1
	s_movk_i32 s2, 0x1388
	v_mul_lo_u32 v1, v1, s2
	v_mov_b32_e32 v3, 1
	v_cmp_ne_u32_e32 vcc, 0, v1
	s_and_saveexec_b64 s[2:3], vcc
	s_cbranch_execz .LBB22_56
; %bb.51:
	v_mov_b32_e32 v2, 0
	v_mov_b32_e32 v5, 1
	;; [unrolled: 1-line block ×3, first 2 shown]
	s_mov_b64 s[18:19], 0xbc8f
	v_mov_b32_e32 v6, 0
	s_mov_b64 s[8:9], 0
	s_brev_b32 s22, -2
	v_mov_b32_e32 v3, v1
	s_branch .LBB22_53
.LBB22_52:                              ;   in Loop: Header=BB22_53 Depth=1
	s_or_b64 exec, exec, s[20:21]
	s_mul_i32 s19, s18, s19
	s_mul_hi_u32 s20, s18, s18
	s_add_i32 s20, s20, s19
	s_add_i32 s20, s20, s19
	s_mul_i32 s21, s18, s18
	s_mul_i32 s19, s20, 3
	s_mul_hi_u32 s23, s21, 3
	s_mul_hi_u32 s18, s20, 3
	s_add_u32 s19, s19, s23
	s_addc_u32 s18, s18, 0
	s_mul_i32 s25, s21, 0x80000001
	s_mul_hi_u32 s23, s21, 0x80000001
	s_add_u32 s19, s25, s19
	s_addc_u32 s19, s23, 0
	s_add_u32 s18, s18, s19
	s_addc_u32 s19, 0, 0
	s_mul_i32 s25, s20, 0x80000001
	s_mul_hi_u32 s23, s20, 0x80000001
	s_add_u32 s18, s25, s18
	s_addc_u32 s19, s23, s19
	s_lshr_b32 s23, s19, 30
	s_lshr_b64 s[18:19], s[18:19], 30
	s_mul_i32 s23, s23, 0x7fffffff
	s_mul_hi_u32 s19, s18, 0x7fffffff
	v_lshrrev_b64 v[11:12], 1, v[3:4]
	s_add_i32 s19, s19, s23
	s_mul_i32 s18, s18, 0x7fffffff
	s_sub_u32 s18, s21, s18
	v_cmp_gt_u64_e32 vcc, 2, v[3:4]
	s_subb_u32 s19, s20, s19
	v_mov_b32_e32 v3, v11
	s_or_b64 s[8:9], vcc, s[8:9]
	v_mov_b32_e32 v4, v12
	s_andn2_b64 exec, exec, s[8:9]
	s_cbranch_execz .LBB22_55
.LBB22_53:                              ; =>This Inner Loop Header: Depth=1
	v_and_b32_e32 v1, 1, v3
	v_cmp_eq_u32_e32 vcc, 1, v1
	s_and_saveexec_b64 s[20:21], vcc
	s_cbranch_execz .LBB22_52
; %bb.54:                               ;   in Loop: Header=BB22_53 Depth=1
	v_mad_u64_u32 v[11:12], s[28:29], s18, v5, 0
	v_mul_lo_u32 v5, s19, v5
	v_mul_lo_u32 v6, s18, v6
	v_mul_hi_u32 v1, v11, 5
	v_add3_u32 v8, v12, v6, v5
	v_mad_u64_u32 v[5:6], s[28:29], v8, 5, v[1:2]
	v_mov_b32_e32 v1, v5
	v_mad_u64_u32 v[12:13], s[28:29], v11, 2, v[1:2]
	v_add_co_u32_e32 v5, vcc, v6, v13
	v_addc_co_u32_e64 v6, s[28:29], 0, 0, vcc
	v_mad_u64_u32 v[5:6], s[28:29], v8, 2, v[5:6]
	v_sub_co_u32_e32 v12, vcc, v11, v5
	v_subb_co_u32_e32 v13, vcc, v8, v6, vcc
	v_lshrrev_b64 v[12:13], 1, v[12:13]
	v_add_co_u32_e32 v1, vcc, v12, v5
	v_addc_co_u32_e32 v12, vcc, v13, v6, vcc
	v_alignbit_b32 v1, v12, v1, 30
	v_mad_u64_u32 v[5:6], s[28:29], v1, s22, 0
	v_lshrrev_b32_e32 v12, 30, v12
	v_mov_b32_e32 v1, v6
	v_mad_u64_u32 v[12:13], s[28:29], v12, s22, v[1:2]
	v_sub_co_u32_e32 v5, vcc, v11, v5
	v_subb_co_u32_e32 v6, vcc, v8, v12, vcc
	s_branch .LBB22_52
.LBB22_55:
	s_or_b64 exec, exec, s[8:9]
	v_add_u32_e32 v1, 0x80000001, v5
	v_min_u32_e32 v1, v1, v5
	v_add_u32_e32 v2, 0x80000001, v1
	v_min_u32_e32 v3, v2, v1
.LBB22_56:
	s_or_b64 exec, exec, s[2:3]
	v_mov_b32_e32 v2, 0
	s_movk_i32 s8, 0x1388
	s_mov_b32 s9, 0xbc8f1391
	s_mov_b32 s18, 0xbc8f
	s_brev_b32 s19, 12
	s_mov_b32 s20, 0xf800000
	v_mov_b32_e32 v1, 0x260
.LBB22_57:                              ; =>This Inner Loop Header: Depth=1
	v_mul_hi_u32 v4, v3, s9
	v_add_f32_e32 v5, 1.0, v2
	s_add_i32 s8, s8, -2
	s_cmp_lg_u32 s8, 0
	v_lshrrev_b32_e32 v4, 15, v4
	v_mul_u32_u24_e32 v6, 0xadc8, v4
	v_sub_u32_e32 v3, v3, v6
	v_mul_lo_u32 v3, v3, s18
	v_mul_u32_u24_e32 v4, 0xd47, v4
	v_xor_b32_e32 v6, 0x7fffffff, v4
	v_sub_u32_e32 v8, 0, v4
	v_cmp_lt_u32_e32 vcc, v3, v4
	v_cndmask_b32_e32 v4, v8, v6, vcc
	v_add_u32_e32 v3, v4, v3
	v_mul_hi_u32 v6, v3, s9
	v_add_u32_e32 v4, -1, v3
	v_cvt_f32_u32_e32 v4, v4
	v_lshrrev_b32_e32 v6, 15, v6
	v_mul_u32_u24_e32 v8, 0xadc8, v6
	v_sub_u32_e32 v3, v3, v8
	v_mul_lo_u32 v3, v3, s18
	v_mul_u32_u24_e32 v6, 0xd47, v6
	v_xor_b32_e32 v8, 0x7fffffff, v6
	v_sub_u32_e32 v11, 0, v6
	v_cmp_lt_u32_e32 vcc, v3, v6
	v_cndmask_b32_e32 v6, v11, v8, vcc
	v_add_u32_e32 v3, v6, v3
	v_mul_hi_u32 v8, v3, s9
	v_add_u32_e32 v6, -1, v3
	v_cvt_f32_u32_e32 v6, v6
	v_fma_f32 v4, v4, s19, 0
	v_lshrrev_b32_e32 v8, 15, v8
	v_mul_u32_u24_e32 v11, 0xadc8, v8
	v_fma_f32 v6, v6, s19, 0
	v_sub_u32_e32 v3, v3, v11
	v_mul_f32_e32 v6, v6, v6
	v_mul_lo_u32 v3, v3, s18
	v_fmac_f32_e32 v6, v4, v4
	v_mul_f32_e32 v4, 0x4f800000, v6
	v_cmp_gt_f32_e32 vcc, s20, v6
	v_mul_u32_u24_e32 v8, 0xd47, v8
	v_cndmask_b32_e32 v4, v6, v4, vcc
	v_xor_b32_e32 v11, 0x7fffffff, v8
	v_sub_u32_e32 v12, 0, v8
	v_sqrt_f32_e32 v6, v4
	v_cmp_lt_u32_e64 s[2:3], v3, v8
	v_cndmask_b32_e64 v8, v12, v11, s[2:3]
	v_add_u32_e32 v3, v8, v3
	v_mul_hi_u32 v11, v3, s9
	v_add_u32_e32 v12, -1, v6
	v_add_u32_e32 v13, 1, v6
	v_fma_f32 v14, -v12, v6, v4
	v_fma_f32 v15, -v13, v6, v4
	v_cmp_ge_f32_e64 s[2:3], 0, v14
	v_cndmask_b32_e64 v6, v6, v12, s[2:3]
	v_cmp_lt_f32_e64 s[2:3], 0, v15
	v_lshrrev_b32_e32 v11, 15, v11
	v_cndmask_b32_e64 v6, v6, v13, s[2:3]
	v_mul_u32_u24_e32 v13, 0xadc8, v11
	v_add_u32_e32 v8, -1, v3
	v_sub_u32_e32 v3, v3, v13
	v_mul_f32_e32 v12, 0x37800000, v6
	v_mul_lo_u32 v3, v3, s18
	v_cndmask_b32_e32 v6, v6, v12, vcc
	v_cmp_class_f32_e32 vcc, v4, v1
	v_cndmask_b32_e32 v4, v6, v4, vcc
	v_mul_u32_u24_e32 v11, 0xd47, v11
	v_cmp_nge_f32_e32 vcc, 1.0, v4
	v_xor_b32_e32 v12, 0x7fffffff, v11
	v_sub_u32_e32 v13, 0, v11
	v_cndmask_b32_e32 v2, v5, v2, vcc
	v_cmp_lt_u32_e32 vcc, v3, v11
	v_cndmask_b32_e32 v5, v13, v12, vcc
	v_add_u32_e32 v3, v5, v3
	v_add_u32_e32 v5, -1, v3
	v_cvt_f32_u32_e32 v5, v5
	v_cvt_f32_u32_e32 v8, v8
	v_add_f32_e32 v4, 1.0, v2
	v_fma_f32 v5, v5, s19, 0
	v_fma_f32 v8, v8, s19, 0
	v_mul_f32_e32 v5, v5, v5
	v_fmac_f32_e32 v5, v8, v8
	v_mul_f32_e32 v6, 0x4f800000, v5
	v_cmp_gt_f32_e32 vcc, s20, v5
	v_cndmask_b32_e32 v5, v5, v6, vcc
	v_sqrt_f32_e32 v6, v5
	v_add_u32_e32 v8, -1, v6
	v_add_u32_e32 v11, 1, v6
	v_fma_f32 v12, -v8, v6, v5
	v_fma_f32 v13, -v11, v6, v5
	v_cmp_ge_f32_e64 s[2:3], 0, v12
	v_cndmask_b32_e64 v6, v6, v8, s[2:3]
	v_cmp_lt_f32_e64 s[2:3], 0, v13
	v_cndmask_b32_e64 v6, v6, v11, s[2:3]
	v_mul_f32_e32 v8, 0x37800000, v6
	v_cndmask_b32_e32 v6, v6, v8, vcc
	v_cmp_class_f32_e32 vcc, v5, v1
	v_cndmask_b32_e32 v5, v6, v5, vcc
	v_cmp_nge_f32_e32 vcc, 1.0, v5
	v_cndmask_b32_e32 v2, v4, v2, vcc
	s_cbranch_scc1 .LBB22_57
; %bb.58:
	v_mul_f32_e32 v1, 4.0, v2
	s_mov_b32 s8, 0x459c4000
	v_div_scale_f32 v2, s[2:3], s8, s8, v1
	v_div_scale_f32 v3, vcc, v1, s8, v1
	v_rcp_f32_e32 v4, v2
	v_fma_f32 v5, -v2, v4, 1.0
	v_fmac_f32_e32 v4, v5, v4
	v_mul_f32_e32 v5, v3, v4
	v_fma_f32 v6, -v2, v5, v3
	v_fmac_f32_e32 v5, v6, v4
	v_fma_f32 v2, -v2, v5, v3
	v_div_fmas_f32 v2, v2, v4, v5
	v_div_fixup_f32 v8, v2, s8, v1
.LBB22_59:
	s_or_b64 exec, exec, s[4:5]
	v_or_b32_e32 v1, 0x200, v0
	v_cmp_gt_u32_e64 s[2:3], s27, v1
	s_and_saveexec_b64 s[8:9], s[2:3]
	s_cbranch_execz .LBB22_69
; %bb.60:
	v_add_u32_e32 v1, s24, v1
	s_movk_i32 s4, 0x1388
	v_mul_lo_u32 v1, v1, s4
	v_mov_b32_e32 v3, 1
	v_cmp_ne_u32_e32 vcc, 0, v1
	s_and_saveexec_b64 s[4:5], vcc
	s_cbranch_execz .LBB22_66
; %bb.61:
	v_mov_b32_e32 v2, 0
	v_mov_b32_e32 v5, 1
	;; [unrolled: 1-line block ×3, first 2 shown]
	s_mov_b64 s[20:21], 0xbc8f
	v_mov_b32_e32 v6, 0
	s_mov_b64 s[18:19], 0
	s_brev_b32 s25, -2
	v_mov_b32_e32 v3, v1
	s_branch .LBB22_63
.LBB22_62:                              ;   in Loop: Header=BB22_63 Depth=1
	s_or_b64 exec, exec, s[22:23]
	s_mul_i32 s21, s20, s21
	s_mul_hi_u32 s22, s20, s20
	s_add_i32 s22, s22, s21
	s_add_i32 s22, s22, s21
	s_mul_i32 s23, s20, s20
	s_mul_i32 s21, s22, 3
	s_mul_hi_u32 s28, s23, 3
	s_mul_hi_u32 s20, s22, 3
	s_add_u32 s21, s21, s28
	s_addc_u32 s20, s20, 0
	s_mul_i32 s29, s23, 0x80000001
	s_mul_hi_u32 s28, s23, 0x80000001
	s_add_u32 s21, s29, s21
	s_addc_u32 s21, s28, 0
	s_add_u32 s20, s20, s21
	s_addc_u32 s21, 0, 0
	s_mul_i32 s29, s22, 0x80000001
	s_mul_hi_u32 s28, s22, 0x80000001
	s_add_u32 s20, s29, s20
	s_addc_u32 s21, s28, s21
	s_lshr_b32 s28, s21, 30
	s_lshr_b64 s[20:21], s[20:21], 30
	s_mul_i32 s28, s28, 0x7fffffff
	s_mul_hi_u32 s21, s20, 0x7fffffff
	v_lshrrev_b64 v[11:12], 1, v[3:4]
	s_add_i32 s21, s21, s28
	s_mul_i32 s20, s20, 0x7fffffff
	s_sub_u32 s20, s23, s20
	v_cmp_gt_u64_e32 vcc, 2, v[3:4]
	s_subb_u32 s21, s22, s21
	v_mov_b32_e32 v3, v11
	s_or_b64 s[18:19], vcc, s[18:19]
	v_mov_b32_e32 v4, v12
	s_andn2_b64 exec, exec, s[18:19]
	s_cbranch_execz .LBB22_65
.LBB22_63:                              ; =>This Inner Loop Header: Depth=1
	v_and_b32_e32 v1, 1, v3
	v_cmp_eq_u32_e32 vcc, 1, v1
	s_and_saveexec_b64 s[22:23], vcc
	s_cbranch_execz .LBB22_62
; %bb.64:                               ;   in Loop: Header=BB22_63 Depth=1
	v_mad_u64_u32 v[11:12], s[28:29], s20, v5, 0
	v_mul_lo_u32 v5, s21, v5
	v_mul_lo_u32 v6, s20, v6
	v_mul_hi_u32 v1, v11, 5
	v_add3_u32 v9, v12, v6, v5
	v_mad_u64_u32 v[5:6], s[28:29], v9, 5, v[1:2]
	v_mov_b32_e32 v1, v5
	v_mad_u64_u32 v[12:13], s[28:29], v11, 2, v[1:2]
	v_add_co_u32_e32 v5, vcc, v6, v13
	v_addc_co_u32_e64 v6, s[28:29], 0, 0, vcc
	v_mad_u64_u32 v[5:6], s[28:29], v9, 2, v[5:6]
	v_sub_co_u32_e32 v12, vcc, v11, v5
	v_subb_co_u32_e32 v13, vcc, v9, v6, vcc
	v_lshrrev_b64 v[12:13], 1, v[12:13]
	v_add_co_u32_e32 v1, vcc, v12, v5
	v_addc_co_u32_e32 v12, vcc, v13, v6, vcc
	v_alignbit_b32 v1, v12, v1, 30
	v_mad_u64_u32 v[5:6], s[28:29], v1, s25, 0
	v_lshrrev_b32_e32 v12, 30, v12
	v_mov_b32_e32 v1, v6
	v_mad_u64_u32 v[12:13], s[28:29], v12, s25, v[1:2]
	v_sub_co_u32_e32 v5, vcc, v11, v5
	v_subb_co_u32_e32 v6, vcc, v9, v12, vcc
	s_branch .LBB22_62
.LBB22_65:
	s_or_b64 exec, exec, s[18:19]
	v_add_u32_e32 v1, 0x80000001, v5
	v_min_u32_e32 v1, v1, v5
	v_add_u32_e32 v2, 0x80000001, v1
	v_min_u32_e32 v3, v2, v1
.LBB22_66:
	s_or_b64 exec, exec, s[4:5]
	v_mov_b32_e32 v2, 0
	s_movk_i32 s18, 0x1388
	s_mov_b32 s19, 0xbc8f1391
	s_mov_b32 s20, 0xbc8f
	s_brev_b32 s21, 12
	s_mov_b32 s22, 0xf800000
	v_mov_b32_e32 v1, 0x260
.LBB22_67:                              ; =>This Inner Loop Header: Depth=1
	v_mul_hi_u32 v4, v3, s19
	v_add_f32_e32 v5, 1.0, v2
	s_add_i32 s18, s18, -2
	s_cmp_lg_u32 s18, 0
	v_lshrrev_b32_e32 v4, 15, v4
	v_mul_u32_u24_e32 v6, 0xadc8, v4
	v_sub_u32_e32 v3, v3, v6
	v_mul_lo_u32 v3, v3, s20
	v_mul_u32_u24_e32 v4, 0xd47, v4
	v_xor_b32_e32 v6, 0x7fffffff, v4
	v_sub_u32_e32 v9, 0, v4
	v_cmp_lt_u32_e32 vcc, v3, v4
	v_cndmask_b32_e32 v4, v9, v6, vcc
	v_add_u32_e32 v3, v4, v3
	v_mul_hi_u32 v6, v3, s19
	v_add_u32_e32 v4, -1, v3
	v_cvt_f32_u32_e32 v4, v4
	v_lshrrev_b32_e32 v6, 15, v6
	v_mul_u32_u24_e32 v9, 0xadc8, v6
	v_sub_u32_e32 v3, v3, v9
	v_mul_lo_u32 v3, v3, s20
	v_mul_u32_u24_e32 v6, 0xd47, v6
	v_xor_b32_e32 v9, 0x7fffffff, v6
	v_sub_u32_e32 v11, 0, v6
	v_cmp_lt_u32_e32 vcc, v3, v6
	v_cndmask_b32_e32 v6, v11, v9, vcc
	v_add_u32_e32 v3, v6, v3
	v_mul_hi_u32 v9, v3, s19
	v_add_u32_e32 v6, -1, v3
	v_cvt_f32_u32_e32 v6, v6
	v_fma_f32 v4, v4, s21, 0
	v_lshrrev_b32_e32 v9, 15, v9
	v_mul_u32_u24_e32 v11, 0xadc8, v9
	v_fma_f32 v6, v6, s21, 0
	v_sub_u32_e32 v3, v3, v11
	v_mul_f32_e32 v6, v6, v6
	v_mul_lo_u32 v3, v3, s20
	v_fmac_f32_e32 v6, v4, v4
	v_mul_f32_e32 v4, 0x4f800000, v6
	v_cmp_gt_f32_e32 vcc, s22, v6
	v_mul_u32_u24_e32 v9, 0xd47, v9
	v_cndmask_b32_e32 v4, v6, v4, vcc
	v_xor_b32_e32 v11, 0x7fffffff, v9
	v_sub_u32_e32 v12, 0, v9
	v_sqrt_f32_e32 v6, v4
	v_cmp_lt_u32_e64 s[4:5], v3, v9
	v_cndmask_b32_e64 v9, v12, v11, s[4:5]
	v_add_u32_e32 v3, v9, v3
	v_mul_hi_u32 v11, v3, s19
	v_add_u32_e32 v12, -1, v6
	v_add_u32_e32 v13, 1, v6
	v_fma_f32 v14, -v12, v6, v4
	v_fma_f32 v15, -v13, v6, v4
	v_cmp_ge_f32_e64 s[4:5], 0, v14
	v_cndmask_b32_e64 v6, v6, v12, s[4:5]
	v_cmp_lt_f32_e64 s[4:5], 0, v15
	v_lshrrev_b32_e32 v11, 15, v11
	v_cndmask_b32_e64 v6, v6, v13, s[4:5]
	v_mul_u32_u24_e32 v13, 0xadc8, v11
	v_add_u32_e32 v9, -1, v3
	v_sub_u32_e32 v3, v3, v13
	v_mul_f32_e32 v12, 0x37800000, v6
	v_mul_lo_u32 v3, v3, s20
	v_cndmask_b32_e32 v6, v6, v12, vcc
	v_cmp_class_f32_e32 vcc, v4, v1
	v_cndmask_b32_e32 v4, v6, v4, vcc
	v_mul_u32_u24_e32 v11, 0xd47, v11
	v_cmp_nge_f32_e32 vcc, 1.0, v4
	v_xor_b32_e32 v12, 0x7fffffff, v11
	v_sub_u32_e32 v13, 0, v11
	v_cndmask_b32_e32 v2, v5, v2, vcc
	v_cmp_lt_u32_e32 vcc, v3, v11
	v_cndmask_b32_e32 v5, v13, v12, vcc
	v_add_u32_e32 v3, v5, v3
	v_add_u32_e32 v5, -1, v3
	v_cvt_f32_u32_e32 v5, v5
	v_cvt_f32_u32_e32 v9, v9
	v_add_f32_e32 v4, 1.0, v2
	v_fma_f32 v5, v5, s21, 0
	v_fma_f32 v9, v9, s21, 0
	v_mul_f32_e32 v5, v5, v5
	v_fmac_f32_e32 v5, v9, v9
	v_mul_f32_e32 v6, 0x4f800000, v5
	v_cmp_gt_f32_e32 vcc, s22, v5
	v_cndmask_b32_e32 v5, v5, v6, vcc
	v_sqrt_f32_e32 v6, v5
	v_add_u32_e32 v9, -1, v6
	v_add_u32_e32 v11, 1, v6
	v_fma_f32 v12, -v9, v6, v5
	v_fma_f32 v13, -v11, v6, v5
	v_cmp_ge_f32_e64 s[4:5], 0, v12
	v_cndmask_b32_e64 v6, v6, v9, s[4:5]
	v_cmp_lt_f32_e64 s[4:5], 0, v13
	v_cndmask_b32_e64 v6, v6, v11, s[4:5]
	v_mul_f32_e32 v9, 0x37800000, v6
	v_cndmask_b32_e32 v6, v6, v9, vcc
	v_cmp_class_f32_e32 vcc, v5, v1
	v_cndmask_b32_e32 v5, v6, v5, vcc
	v_cmp_nge_f32_e32 vcc, 1.0, v5
	v_cndmask_b32_e32 v2, v4, v2, vcc
	s_cbranch_scc1 .LBB22_67
; %bb.68:
	v_mul_f32_e32 v1, 4.0, v2
	s_mov_b32 s18, 0x459c4000
	v_div_scale_f32 v2, s[4:5], s18, s18, v1
	v_div_scale_f32 v3, vcc, v1, s18, v1
	v_rcp_f32_e32 v4, v2
	v_fma_f32 v5, -v2, v4, 1.0
	v_fmac_f32_e32 v4, v5, v4
	v_mul_f32_e32 v5, v3, v4
	v_fma_f32 v6, -v2, v5, v3
	v_fmac_f32_e32 v5, v6, v4
	v_fma_f32 v2, -v2, v5, v3
	v_div_fmas_f32 v2, v2, v4, v5
	v_div_fixup_f32 v9, v2, s18, v1
.LBB22_69:
	s_or_b64 exec, exec, s[8:9]
	v_or_b32_e32 v1, 0x300, v0
	v_cmp_gt_u32_e64 s[4:5], s27, v1
	s_and_saveexec_b64 s[18:19], s[4:5]
	s_cbranch_execz .LBB22_79
; %bb.70:
	v_add_u32_e32 v1, s24, v1
	s_movk_i32 s8, 0x1388
	v_mul_lo_u32 v1, v1, s8
	v_mov_b32_e32 v3, 1
	v_cmp_ne_u32_e32 vcc, 0, v1
	s_and_saveexec_b64 s[8:9], vcc
	s_cbranch_execz .LBB22_76
; %bb.71:
	v_mov_b32_e32 v2, 0
	v_mov_b32_e32 v5, 1
	;; [unrolled: 1-line block ×3, first 2 shown]
	s_mov_b64 s[22:23], 0xbc8f
	v_mov_b32_e32 v6, 0
	s_mov_b64 s[20:21], 0
	s_brev_b32 s28, -2
	v_mov_b32_e32 v3, v1
	s_branch .LBB22_73
.LBB22_72:                              ;   in Loop: Header=BB22_73 Depth=1
	s_or_b64 exec, exec, s[24:25]
	s_mul_i32 s23, s22, s23
	s_mul_hi_u32 s24, s22, s22
	s_add_i32 s24, s24, s23
	s_add_i32 s24, s24, s23
	s_mul_i32 s25, s22, s22
	s_mul_i32 s23, s24, 3
	s_mul_hi_u32 s29, s25, 3
	s_mul_hi_u32 s22, s24, 3
	s_add_u32 s23, s23, s29
	s_addc_u32 s22, s22, 0
	s_mul_i32 s30, s25, 0x80000001
	s_mul_hi_u32 s29, s25, 0x80000001
	s_add_u32 s23, s30, s23
	s_addc_u32 s23, s29, 0
	s_add_u32 s22, s22, s23
	s_addc_u32 s23, 0, 0
	s_mul_i32 s30, s24, 0x80000001
	s_mul_hi_u32 s29, s24, 0x80000001
	s_add_u32 s22, s30, s22
	s_addc_u32 s23, s29, s23
	s_lshr_b32 s29, s23, 30
	s_lshr_b64 s[22:23], s[22:23], 30
	s_mul_i32 s29, s29, 0x7fffffff
	s_mul_hi_u32 s23, s22, 0x7fffffff
	v_lshrrev_b64 v[10:11], 1, v[3:4]
	s_add_i32 s23, s23, s29
	s_mul_i32 s22, s22, 0x7fffffff
	s_sub_u32 s22, s25, s22
	v_cmp_gt_u64_e32 vcc, 2, v[3:4]
	s_subb_u32 s23, s24, s23
	v_mov_b32_e32 v3, v10
	s_or_b64 s[20:21], vcc, s[20:21]
	v_mov_b32_e32 v4, v11
	s_andn2_b64 exec, exec, s[20:21]
	s_cbranch_execz .LBB22_75
.LBB22_73:                              ; =>This Inner Loop Header: Depth=1
	v_and_b32_e32 v1, 1, v3
	v_cmp_eq_u32_e32 vcc, 1, v1
	s_and_saveexec_b64 s[24:25], vcc
	s_cbranch_execz .LBB22_72
; %bb.74:                               ;   in Loop: Header=BB22_73 Depth=1
	v_mad_u64_u32 v[10:11], s[30:31], s22, v5, 0
	v_mul_lo_u32 v5, s23, v5
	v_mul_lo_u32 v6, s22, v6
	v_mul_hi_u32 v1, v10, 5
	v_add3_u32 v13, v11, v6, v5
	v_mad_u64_u32 v[5:6], s[30:31], v13, 5, v[1:2]
	v_mov_b32_e32 v1, v5
	v_mad_u64_u32 v[11:12], s[30:31], v10, 2, v[1:2]
	v_add_co_u32_e32 v5, vcc, v6, v12
	v_addc_co_u32_e64 v6, s[30:31], 0, 0, vcc
	v_mad_u64_u32 v[5:6], s[30:31], v13, 2, v[5:6]
	v_sub_co_u32_e32 v11, vcc, v10, v5
	v_subb_co_u32_e32 v12, vcc, v13, v6, vcc
	v_lshrrev_b64 v[11:12], 1, v[11:12]
	v_add_co_u32_e32 v1, vcc, v11, v5
	v_addc_co_u32_e32 v11, vcc, v12, v6, vcc
	v_alignbit_b32 v1, v11, v1, 30
	v_mad_u64_u32 v[5:6], s[30:31], v1, s28, 0
	v_lshrrev_b32_e32 v11, 30, v11
	v_mov_b32_e32 v1, v6
	v_mad_u64_u32 v[11:12], s[30:31], v11, s28, v[1:2]
	v_sub_co_u32_e32 v5, vcc, v10, v5
	v_subb_co_u32_e32 v6, vcc, v13, v11, vcc
	s_branch .LBB22_72
.LBB22_75:
	s_or_b64 exec, exec, s[20:21]
	v_add_u32_e32 v1, 0x80000001, v5
	v_min_u32_e32 v1, v1, v5
	v_add_u32_e32 v2, 0x80000001, v1
	v_min_u32_e32 v3, v2, v1
.LBB22_76:
	s_or_b64 exec, exec, s[8:9]
	v_mov_b32_e32 v2, 0
	s_movk_i32 s20, 0x1388
	s_mov_b32 s21, 0xbc8f1391
	s_mov_b32 s22, 0xbc8f
	s_brev_b32 s23, 12
	s_mov_b32 s24, 0xf800000
	v_mov_b32_e32 v1, 0x260
.LBB22_77:                              ; =>This Inner Loop Header: Depth=1
	v_mul_hi_u32 v4, v3, s21
	v_add_f32_e32 v5, 1.0, v2
	s_add_i32 s20, s20, -2
	s_cmp_lg_u32 s20, 0
	v_lshrrev_b32_e32 v4, 15, v4
	v_mul_u32_u24_e32 v6, 0xadc8, v4
	v_sub_u32_e32 v3, v3, v6
	v_mul_lo_u32 v3, v3, s22
	v_mul_u32_u24_e32 v4, 0xd47, v4
	v_xor_b32_e32 v6, 0x7fffffff, v4
	v_sub_u32_e32 v10, 0, v4
	v_cmp_lt_u32_e32 vcc, v3, v4
	v_cndmask_b32_e32 v4, v10, v6, vcc
	v_add_u32_e32 v3, v4, v3
	v_mul_hi_u32 v6, v3, s21
	v_add_u32_e32 v4, -1, v3
	v_cvt_f32_u32_e32 v4, v4
	v_lshrrev_b32_e32 v6, 15, v6
	v_mul_u32_u24_e32 v10, 0xadc8, v6
	v_sub_u32_e32 v3, v3, v10
	v_mul_lo_u32 v3, v3, s22
	v_mul_u32_u24_e32 v6, 0xd47, v6
	v_xor_b32_e32 v10, 0x7fffffff, v6
	v_sub_u32_e32 v11, 0, v6
	v_cmp_lt_u32_e32 vcc, v3, v6
	v_cndmask_b32_e32 v6, v11, v10, vcc
	v_add_u32_e32 v3, v6, v3
	v_mul_hi_u32 v10, v3, s21
	v_add_u32_e32 v6, -1, v3
	v_cvt_f32_u32_e32 v6, v6
	v_fma_f32 v4, v4, s23, 0
	v_lshrrev_b32_e32 v10, 15, v10
	v_mul_u32_u24_e32 v11, 0xadc8, v10
	v_fma_f32 v6, v6, s23, 0
	v_sub_u32_e32 v3, v3, v11
	v_mul_f32_e32 v6, v6, v6
	v_mul_lo_u32 v3, v3, s22
	v_fmac_f32_e32 v6, v4, v4
	v_mul_f32_e32 v4, 0x4f800000, v6
	v_cmp_gt_f32_e32 vcc, s24, v6
	v_mul_u32_u24_e32 v10, 0xd47, v10
	v_cndmask_b32_e32 v4, v6, v4, vcc
	v_xor_b32_e32 v11, 0x7fffffff, v10
	v_sub_u32_e32 v12, 0, v10
	v_sqrt_f32_e32 v6, v4
	v_cmp_lt_u32_e64 s[8:9], v3, v10
	v_cndmask_b32_e64 v10, v12, v11, s[8:9]
	v_add_u32_e32 v3, v10, v3
	v_mul_hi_u32 v11, v3, s21
	v_add_u32_e32 v12, -1, v6
	v_add_u32_e32 v13, 1, v6
	v_fma_f32 v14, -v12, v6, v4
	v_fma_f32 v15, -v13, v6, v4
	v_cmp_ge_f32_e64 s[8:9], 0, v14
	v_cndmask_b32_e64 v6, v6, v12, s[8:9]
	v_cmp_lt_f32_e64 s[8:9], 0, v15
	v_lshrrev_b32_e32 v11, 15, v11
	v_cndmask_b32_e64 v6, v6, v13, s[8:9]
	v_mul_u32_u24_e32 v13, 0xadc8, v11
	v_add_u32_e32 v10, -1, v3
	v_sub_u32_e32 v3, v3, v13
	v_mul_f32_e32 v12, 0x37800000, v6
	v_mul_lo_u32 v3, v3, s22
	v_cndmask_b32_e32 v6, v6, v12, vcc
	v_cmp_class_f32_e32 vcc, v4, v1
	v_cndmask_b32_e32 v4, v6, v4, vcc
	v_mul_u32_u24_e32 v11, 0xd47, v11
	v_cmp_nge_f32_e32 vcc, 1.0, v4
	v_xor_b32_e32 v12, 0x7fffffff, v11
	v_sub_u32_e32 v13, 0, v11
	v_cndmask_b32_e32 v2, v5, v2, vcc
	v_cmp_lt_u32_e32 vcc, v3, v11
	v_cndmask_b32_e32 v5, v13, v12, vcc
	v_add_u32_e32 v3, v5, v3
	v_add_u32_e32 v5, -1, v3
	v_cvt_f32_u32_e32 v5, v5
	v_cvt_f32_u32_e32 v10, v10
	v_add_f32_e32 v4, 1.0, v2
	v_fma_f32 v5, v5, s23, 0
	v_fma_f32 v10, v10, s23, 0
	v_mul_f32_e32 v5, v5, v5
	v_fmac_f32_e32 v5, v10, v10
	v_mul_f32_e32 v6, 0x4f800000, v5
	v_cmp_gt_f32_e32 vcc, s24, v5
	v_cndmask_b32_e32 v5, v5, v6, vcc
	v_sqrt_f32_e32 v6, v5
	v_add_u32_e32 v10, -1, v6
	v_add_u32_e32 v11, 1, v6
	v_fma_f32 v12, -v10, v6, v5
	v_fma_f32 v13, -v11, v6, v5
	v_cmp_ge_f32_e64 s[8:9], 0, v12
	v_cndmask_b32_e64 v6, v6, v10, s[8:9]
	v_cmp_lt_f32_e64 s[8:9], 0, v13
	v_cndmask_b32_e64 v6, v6, v11, s[8:9]
	v_mul_f32_e32 v10, 0x37800000, v6
	v_cndmask_b32_e32 v6, v6, v10, vcc
	v_cmp_class_f32_e32 vcc, v5, v1
	v_cndmask_b32_e32 v5, v6, v5, vcc
	v_cmp_nge_f32_e32 vcc, 1.0, v5
	v_cndmask_b32_e32 v2, v4, v2, vcc
	s_cbranch_scc1 .LBB22_77
; %bb.78:
	v_mul_f32_e32 v1, 4.0, v2
	s_mov_b32 s20, 0x459c4000
	v_div_scale_f32 v2, s[8:9], s20, s20, v1
	v_div_scale_f32 v3, vcc, v1, s20, v1
	v_rcp_f32_e32 v4, v2
	v_fma_f32 v5, -v2, v4, 1.0
	v_fmac_f32_e32 v4, v5, v4
	v_mul_f32_e32 v5, v3, v4
	v_fma_f32 v6, -v2, v5, v3
	v_fmac_f32_e32 v5, v6, v4
	v_fma_f32 v2, -v2, v5, v3
	v_div_fmas_f32 v2, v2, v4, v5
	v_div_fixup_f32 v10, v2, s20, v1
.LBB22_79:
	s_or_b64 exec, exec, s[18:19]
	v_add_f32_e32 v1, v7, v8
	v_cndmask_b32_e64 v1, v7, v1, s[0:1]
	v_add_f32_e32 v2, v9, v1
	v_cndmask_b32_e64 v1, v1, v2, s[2:3]
	;; [unrolled: 2-line block ×3, first 2 shown]
	v_mbcnt_lo_u32_b32 v2, -1, 0
	v_mbcnt_hi_u32_b32 v2, -1, v2
	v_and_b32_e32 v4, 63, v2
	v_cmp_ne_u32_e32 vcc, 63, v4
	v_addc_co_u32_e32 v3, vcc, 0, v2, vcc
	v_lshlrev_b32_e32 v3, 2, v3
	ds_bpermute_b32 v3, v3, v1
	s_min_u32 s4, s27, 0x100
	v_and_b32_e32 v5, 0xc0, v0
	v_sub_u32_e64 v5, s4, v5 clamp
	v_add_u32_e32 v6, 1, v4
	v_cmp_gt_u32_e64 s[0:1], 62, v4
	s_waitcnt lgkmcnt(0)
	v_add_f32_e32 v3, v1, v3
	v_cmp_lt_u32_e32 vcc, v6, v5
	v_cndmask_b32_e64 v6, 0, 2, s[0:1]
	v_cndmask_b32_e32 v3, v1, v3, vcc
	v_add_lshl_u32 v6, v6, v2, 2
	ds_bpermute_b32 v6, v6, v3
	v_add_u32_e32 v7, 2, v4
	v_cmp_lt_u32_e64 s[0:1], v7, v5
	v_add_u32_e32 v7, 4, v4
	s_waitcnt lgkmcnt(0)
	v_add_f32_e32 v6, v3, v6
	v_cndmask_b32_e64 v3, v3, v6, s[0:1]
	v_cmp_gt_u32_e64 s[0:1], 60, v4
	v_cndmask_b32_e64 v6, 0, 4, s[0:1]
	v_add_lshl_u32 v6, v6, v2, 2
	ds_bpermute_b32 v6, v6, v3
	v_cmp_lt_u32_e64 s[0:1], v7, v5
	v_add_u32_e32 v7, 8, v4
	s_waitcnt lgkmcnt(0)
	v_add_f32_e32 v6, v3, v6
	v_cndmask_b32_e64 v3, v3, v6, s[0:1]
	v_cmp_gt_u32_e64 s[0:1], 56, v4
	v_cndmask_b32_e64 v6, 0, 8, s[0:1]
	v_add_lshl_u32 v6, v6, v2, 2
	ds_bpermute_b32 v6, v6, v3
	v_cmp_lt_u32_e64 s[0:1], v7, v5
	v_add_u32_e32 v7, 16, v4
	s_waitcnt lgkmcnt(0)
	v_add_f32_e32 v6, v3, v6
	v_cndmask_b32_e64 v3, v3, v6, s[0:1]
	v_cmp_gt_u32_e64 s[0:1], 48, v4
	v_cndmask_b32_e64 v6, 0, 16, s[0:1]
	v_add_lshl_u32 v6, v6, v2, 2
	ds_bpermute_b32 v6, v6, v3
	v_cmp_lt_u32_e64 s[0:1], v7, v5
	v_add_u32_e32 v4, 32, v4
	s_waitcnt lgkmcnt(0)
	v_add_f32_e32 v6, v3, v6
	v_cndmask_b32_e64 v6, v3, v6, s[0:1]
	v_lshlrev_b32_e32 v3, 2, v2
	v_or_b32_e32 v7, 0x80, v3
	ds_bpermute_b32 v7, v7, v6
	v_cmp_lt_u32_e64 s[0:1], v4, v5
	s_waitcnt lgkmcnt(0)
	v_add_f32_e32 v7, v6, v7
	v_cndmask_b32_e64 v4, v6, v7, s[0:1]
	v_cndmask_b32_e32 v1, v1, v4, vcc
	v_cmp_eq_u32_e32 vcc, 0, v2
	s_and_saveexec_b64 s[0:1], vcc
; %bb.80:
	v_lshrrev_b32_e32 v4, 4, v0
	v_and_b32_e32 v4, 12, v4
	ds_write_b32 v4, v1 offset:16
; %bb.81:
	s_or_b64 exec, exec, s[0:1]
	v_cmp_gt_u32_e32 vcc, 4, v0
	s_waitcnt lgkmcnt(0)
	s_barrier
	s_and_saveexec_b64 s[2:3], vcc
	s_cbranch_execz .LBB22_83
; %bb.82:
	ds_read_b32 v1, v3 offset:16
	v_and_b32_e32 v4, 3, v2
	v_cmp_ne_u32_e32 vcc, 3, v4
	v_addc_co_u32_e32 v2, vcc, 0, v2, vcc
	v_lshlrev_b32_e32 v2, 2, v2
	s_waitcnt lgkmcnt(0)
	ds_bpermute_b32 v2, v2, v1
	s_add_i32 s4, s4, 63
	s_lshr_b32 s0, s4, 6
	v_add_u32_e32 v5, 1, v4
	v_cmp_gt_u32_e32 vcc, s0, v5
	s_waitcnt lgkmcnt(0)
	v_add_f32_e32 v2, v1, v2
	v_cndmask_b32_e32 v2, v1, v2, vcc
	v_or_b32_e32 v3, 8, v3
	ds_bpermute_b32 v3, v3, v2
	v_add_u32_e32 v4, 2, v4
	v_cmp_gt_u32_e64 s[0:1], s0, v4
	s_waitcnt lgkmcnt(0)
	v_add_f32_e32 v3, v2, v3
	v_cndmask_b32_e64 v2, v2, v3, s[0:1]
	v_cndmask_b32_e32 v1, v1, v2, vcc
.LBB22_83:
	s_or_b64 exec, exec, s[2:3]
.LBB22_84:
	v_cmp_eq_u32_e32 vcc, 0, v0
	s_and_saveexec_b64 s[0:1], vcc
	s_cbranch_execnz .LBB22_86
; %bb.85:
	s_endpgm
.LBB22_86:
	s_mul_i32 s0, s16, s15
	s_mul_hi_u32 s1, s16, s14
	s_add_i32 s0, s1, s0
	s_mul_i32 s1, s17, s14
	s_add_i32 s1, s0, s1
	s_mul_i32 s0, s16, s14
	s_lshl_b64 s[0:1], s[0:1], 2
	s_add_u32 s2, s12, s0
	s_addc_u32 s3, s13, s1
	s_cmp_eq_u64 s[10:11], 0
	s_cselect_b64 vcc, -1, 0
	s_lshl_b64 s[0:1], s[6:7], 2
	s_waitcnt lgkmcnt(0)
	v_mov_b32_e32 v0, s26
	s_add_u32 s0, s2, s0
	v_cndmask_b32_e32 v0, v1, v0, vcc
	s_addc_u32 s1, s3, s1
	v_mov_b32_e32 v1, 0
	global_store_dword v1, v0, s[0:1]
	s_endpgm
	.section	.rodata,"a",@progbits
	.p2align	6, 0x0
	.amdhsa_kernel _ZN7rocprim17ROCPRIM_400000_NS6detail17trampoline_kernelINS0_14default_configENS1_22reduce_config_selectorIfEEZNS1_11reduce_implILb1ES3_N6thrust23THRUST_200600_302600_NS11hip_rocprim26transform_input_iterator_tIfNS8_17counting_iteratorIiNS8_11use_defaultESC_SC_EE11estimate_piEEPffNS8_4plusIfEEEE10hipError_tPvRmT1_T2_T3_mT4_P12ihipStream_tbEUlT_E0_NS1_11comp_targetILNS1_3genE2ELNS1_11target_archE906ELNS1_3gpuE6ELNS1_3repE0EEENS1_30default_config_static_selectorELNS0_4arch9wavefront6targetE1EEEvSM_
		.amdhsa_group_segment_fixed_size 32
		.amdhsa_private_segment_fixed_size 0
		.amdhsa_kernarg_size 56
		.amdhsa_user_sgpr_count 6
		.amdhsa_user_sgpr_private_segment_buffer 1
		.amdhsa_user_sgpr_dispatch_ptr 0
		.amdhsa_user_sgpr_queue_ptr 0
		.amdhsa_user_sgpr_kernarg_segment_ptr 1
		.amdhsa_user_sgpr_dispatch_id 0
		.amdhsa_user_sgpr_flat_scratch_init 0
		.amdhsa_user_sgpr_private_segment_size 0
		.amdhsa_uses_dynamic_stack 0
		.amdhsa_system_sgpr_private_segment_wavefront_offset 0
		.amdhsa_system_sgpr_workgroup_id_x 1
		.amdhsa_system_sgpr_workgroup_id_y 0
		.amdhsa_system_sgpr_workgroup_id_z 0
		.amdhsa_system_sgpr_workgroup_info 0
		.amdhsa_system_vgpr_workitem_id 0
		.amdhsa_next_free_vgpr 16
		.amdhsa_next_free_sgpr 32
		.amdhsa_reserve_vcc 1
		.amdhsa_reserve_flat_scratch 0
		.amdhsa_float_round_mode_32 0
		.amdhsa_float_round_mode_16_64 0
		.amdhsa_float_denorm_mode_32 3
		.amdhsa_float_denorm_mode_16_64 3
		.amdhsa_dx10_clamp 1
		.amdhsa_ieee_mode 1
		.amdhsa_fp16_overflow 0
		.amdhsa_exception_fp_ieee_invalid_op 0
		.amdhsa_exception_fp_denorm_src 0
		.amdhsa_exception_fp_ieee_div_zero 0
		.amdhsa_exception_fp_ieee_overflow 0
		.amdhsa_exception_fp_ieee_underflow 0
		.amdhsa_exception_fp_ieee_inexact 0
		.amdhsa_exception_int_div_zero 0
	.end_amdhsa_kernel
	.section	.text._ZN7rocprim17ROCPRIM_400000_NS6detail17trampoline_kernelINS0_14default_configENS1_22reduce_config_selectorIfEEZNS1_11reduce_implILb1ES3_N6thrust23THRUST_200600_302600_NS11hip_rocprim26transform_input_iterator_tIfNS8_17counting_iteratorIiNS8_11use_defaultESC_SC_EE11estimate_piEEPffNS8_4plusIfEEEE10hipError_tPvRmT1_T2_T3_mT4_P12ihipStream_tbEUlT_E0_NS1_11comp_targetILNS1_3genE2ELNS1_11target_archE906ELNS1_3gpuE6ELNS1_3repE0EEENS1_30default_config_static_selectorELNS0_4arch9wavefront6targetE1EEEvSM_,"axG",@progbits,_ZN7rocprim17ROCPRIM_400000_NS6detail17trampoline_kernelINS0_14default_configENS1_22reduce_config_selectorIfEEZNS1_11reduce_implILb1ES3_N6thrust23THRUST_200600_302600_NS11hip_rocprim26transform_input_iterator_tIfNS8_17counting_iteratorIiNS8_11use_defaultESC_SC_EE11estimate_piEEPffNS8_4plusIfEEEE10hipError_tPvRmT1_T2_T3_mT4_P12ihipStream_tbEUlT_E0_NS1_11comp_targetILNS1_3genE2ELNS1_11target_archE906ELNS1_3gpuE6ELNS1_3repE0EEENS1_30default_config_static_selectorELNS0_4arch9wavefront6targetE1EEEvSM_,comdat
.Lfunc_end22:
	.size	_ZN7rocprim17ROCPRIM_400000_NS6detail17trampoline_kernelINS0_14default_configENS1_22reduce_config_selectorIfEEZNS1_11reduce_implILb1ES3_N6thrust23THRUST_200600_302600_NS11hip_rocprim26transform_input_iterator_tIfNS8_17counting_iteratorIiNS8_11use_defaultESC_SC_EE11estimate_piEEPffNS8_4plusIfEEEE10hipError_tPvRmT1_T2_T3_mT4_P12ihipStream_tbEUlT_E0_NS1_11comp_targetILNS1_3genE2ELNS1_11target_archE906ELNS1_3gpuE6ELNS1_3repE0EEENS1_30default_config_static_selectorELNS0_4arch9wavefront6targetE1EEEvSM_, .Lfunc_end22-_ZN7rocprim17ROCPRIM_400000_NS6detail17trampoline_kernelINS0_14default_configENS1_22reduce_config_selectorIfEEZNS1_11reduce_implILb1ES3_N6thrust23THRUST_200600_302600_NS11hip_rocprim26transform_input_iterator_tIfNS8_17counting_iteratorIiNS8_11use_defaultESC_SC_EE11estimate_piEEPffNS8_4plusIfEEEE10hipError_tPvRmT1_T2_T3_mT4_P12ihipStream_tbEUlT_E0_NS1_11comp_targetILNS1_3genE2ELNS1_11target_archE906ELNS1_3gpuE6ELNS1_3repE0EEENS1_30default_config_static_selectorELNS0_4arch9wavefront6targetE1EEEvSM_
                                        ; -- End function
	.set _ZN7rocprim17ROCPRIM_400000_NS6detail17trampoline_kernelINS0_14default_configENS1_22reduce_config_selectorIfEEZNS1_11reduce_implILb1ES3_N6thrust23THRUST_200600_302600_NS11hip_rocprim26transform_input_iterator_tIfNS8_17counting_iteratorIiNS8_11use_defaultESC_SC_EE11estimate_piEEPffNS8_4plusIfEEEE10hipError_tPvRmT1_T2_T3_mT4_P12ihipStream_tbEUlT_E0_NS1_11comp_targetILNS1_3genE2ELNS1_11target_archE906ELNS1_3gpuE6ELNS1_3repE0EEENS1_30default_config_static_selectorELNS0_4arch9wavefront6targetE1EEEvSM_.num_vgpr, 16
	.set _ZN7rocprim17ROCPRIM_400000_NS6detail17trampoline_kernelINS0_14default_configENS1_22reduce_config_selectorIfEEZNS1_11reduce_implILb1ES3_N6thrust23THRUST_200600_302600_NS11hip_rocprim26transform_input_iterator_tIfNS8_17counting_iteratorIiNS8_11use_defaultESC_SC_EE11estimate_piEEPffNS8_4plusIfEEEE10hipError_tPvRmT1_T2_T3_mT4_P12ihipStream_tbEUlT_E0_NS1_11comp_targetILNS1_3genE2ELNS1_11target_archE906ELNS1_3gpuE6ELNS1_3repE0EEENS1_30default_config_static_selectorELNS0_4arch9wavefront6targetE1EEEvSM_.num_agpr, 0
	.set _ZN7rocprim17ROCPRIM_400000_NS6detail17trampoline_kernelINS0_14default_configENS1_22reduce_config_selectorIfEEZNS1_11reduce_implILb1ES3_N6thrust23THRUST_200600_302600_NS11hip_rocprim26transform_input_iterator_tIfNS8_17counting_iteratorIiNS8_11use_defaultESC_SC_EE11estimate_piEEPffNS8_4plusIfEEEE10hipError_tPvRmT1_T2_T3_mT4_P12ihipStream_tbEUlT_E0_NS1_11comp_targetILNS1_3genE2ELNS1_11target_archE906ELNS1_3gpuE6ELNS1_3repE0EEENS1_30default_config_static_selectorELNS0_4arch9wavefront6targetE1EEEvSM_.numbered_sgpr, 32
	.set _ZN7rocprim17ROCPRIM_400000_NS6detail17trampoline_kernelINS0_14default_configENS1_22reduce_config_selectorIfEEZNS1_11reduce_implILb1ES3_N6thrust23THRUST_200600_302600_NS11hip_rocprim26transform_input_iterator_tIfNS8_17counting_iteratorIiNS8_11use_defaultESC_SC_EE11estimate_piEEPffNS8_4plusIfEEEE10hipError_tPvRmT1_T2_T3_mT4_P12ihipStream_tbEUlT_E0_NS1_11comp_targetILNS1_3genE2ELNS1_11target_archE906ELNS1_3gpuE6ELNS1_3repE0EEENS1_30default_config_static_selectorELNS0_4arch9wavefront6targetE1EEEvSM_.num_named_barrier, 0
	.set _ZN7rocprim17ROCPRIM_400000_NS6detail17trampoline_kernelINS0_14default_configENS1_22reduce_config_selectorIfEEZNS1_11reduce_implILb1ES3_N6thrust23THRUST_200600_302600_NS11hip_rocprim26transform_input_iterator_tIfNS8_17counting_iteratorIiNS8_11use_defaultESC_SC_EE11estimate_piEEPffNS8_4plusIfEEEE10hipError_tPvRmT1_T2_T3_mT4_P12ihipStream_tbEUlT_E0_NS1_11comp_targetILNS1_3genE2ELNS1_11target_archE906ELNS1_3gpuE6ELNS1_3repE0EEENS1_30default_config_static_selectorELNS0_4arch9wavefront6targetE1EEEvSM_.private_seg_size, 0
	.set _ZN7rocprim17ROCPRIM_400000_NS6detail17trampoline_kernelINS0_14default_configENS1_22reduce_config_selectorIfEEZNS1_11reduce_implILb1ES3_N6thrust23THRUST_200600_302600_NS11hip_rocprim26transform_input_iterator_tIfNS8_17counting_iteratorIiNS8_11use_defaultESC_SC_EE11estimate_piEEPffNS8_4plusIfEEEE10hipError_tPvRmT1_T2_T3_mT4_P12ihipStream_tbEUlT_E0_NS1_11comp_targetILNS1_3genE2ELNS1_11target_archE906ELNS1_3gpuE6ELNS1_3repE0EEENS1_30default_config_static_selectorELNS0_4arch9wavefront6targetE1EEEvSM_.uses_vcc, 1
	.set _ZN7rocprim17ROCPRIM_400000_NS6detail17trampoline_kernelINS0_14default_configENS1_22reduce_config_selectorIfEEZNS1_11reduce_implILb1ES3_N6thrust23THRUST_200600_302600_NS11hip_rocprim26transform_input_iterator_tIfNS8_17counting_iteratorIiNS8_11use_defaultESC_SC_EE11estimate_piEEPffNS8_4plusIfEEEE10hipError_tPvRmT1_T2_T3_mT4_P12ihipStream_tbEUlT_E0_NS1_11comp_targetILNS1_3genE2ELNS1_11target_archE906ELNS1_3gpuE6ELNS1_3repE0EEENS1_30default_config_static_selectorELNS0_4arch9wavefront6targetE1EEEvSM_.uses_flat_scratch, 0
	.set _ZN7rocprim17ROCPRIM_400000_NS6detail17trampoline_kernelINS0_14default_configENS1_22reduce_config_selectorIfEEZNS1_11reduce_implILb1ES3_N6thrust23THRUST_200600_302600_NS11hip_rocprim26transform_input_iterator_tIfNS8_17counting_iteratorIiNS8_11use_defaultESC_SC_EE11estimate_piEEPffNS8_4plusIfEEEE10hipError_tPvRmT1_T2_T3_mT4_P12ihipStream_tbEUlT_E0_NS1_11comp_targetILNS1_3genE2ELNS1_11target_archE906ELNS1_3gpuE6ELNS1_3repE0EEENS1_30default_config_static_selectorELNS0_4arch9wavefront6targetE1EEEvSM_.has_dyn_sized_stack, 0
	.set _ZN7rocprim17ROCPRIM_400000_NS6detail17trampoline_kernelINS0_14default_configENS1_22reduce_config_selectorIfEEZNS1_11reduce_implILb1ES3_N6thrust23THRUST_200600_302600_NS11hip_rocprim26transform_input_iterator_tIfNS8_17counting_iteratorIiNS8_11use_defaultESC_SC_EE11estimate_piEEPffNS8_4plusIfEEEE10hipError_tPvRmT1_T2_T3_mT4_P12ihipStream_tbEUlT_E0_NS1_11comp_targetILNS1_3genE2ELNS1_11target_archE906ELNS1_3gpuE6ELNS1_3repE0EEENS1_30default_config_static_selectorELNS0_4arch9wavefront6targetE1EEEvSM_.has_recursion, 0
	.set _ZN7rocprim17ROCPRIM_400000_NS6detail17trampoline_kernelINS0_14default_configENS1_22reduce_config_selectorIfEEZNS1_11reduce_implILb1ES3_N6thrust23THRUST_200600_302600_NS11hip_rocprim26transform_input_iterator_tIfNS8_17counting_iteratorIiNS8_11use_defaultESC_SC_EE11estimate_piEEPffNS8_4plusIfEEEE10hipError_tPvRmT1_T2_T3_mT4_P12ihipStream_tbEUlT_E0_NS1_11comp_targetILNS1_3genE2ELNS1_11target_archE906ELNS1_3gpuE6ELNS1_3repE0EEENS1_30default_config_static_selectorELNS0_4arch9wavefront6targetE1EEEvSM_.has_indirect_call, 0
	.section	.AMDGPU.csdata,"",@progbits
; Kernel info:
; codeLenInByte = 10248
; TotalNumSgprs: 36
; NumVgprs: 16
; ScratchSize: 0
; MemoryBound: 0
; FloatMode: 240
; IeeeMode: 1
; LDSByteSize: 32 bytes/workgroup (compile time only)
; SGPRBlocks: 4
; VGPRBlocks: 3
; NumSGPRsForWavesPerEU: 36
; NumVGPRsForWavesPerEU: 16
; Occupancy: 10
; WaveLimiterHint : 0
; COMPUTE_PGM_RSRC2:SCRATCH_EN: 0
; COMPUTE_PGM_RSRC2:USER_SGPR: 6
; COMPUTE_PGM_RSRC2:TRAP_HANDLER: 0
; COMPUTE_PGM_RSRC2:TGID_X_EN: 1
; COMPUTE_PGM_RSRC2:TGID_Y_EN: 0
; COMPUTE_PGM_RSRC2:TGID_Z_EN: 0
; COMPUTE_PGM_RSRC2:TIDIG_COMP_CNT: 0
	.section	.text._ZN7rocprim17ROCPRIM_400000_NS6detail17trampoline_kernelINS0_14default_configENS1_22reduce_config_selectorIfEEZNS1_11reduce_implILb1ES3_N6thrust23THRUST_200600_302600_NS11hip_rocprim26transform_input_iterator_tIfNS8_17counting_iteratorIiNS8_11use_defaultESC_SC_EE11estimate_piEEPffNS8_4plusIfEEEE10hipError_tPvRmT1_T2_T3_mT4_P12ihipStream_tbEUlT_E0_NS1_11comp_targetILNS1_3genE10ELNS1_11target_archE1201ELNS1_3gpuE5ELNS1_3repE0EEENS1_30default_config_static_selectorELNS0_4arch9wavefront6targetE1EEEvSM_,"axG",@progbits,_ZN7rocprim17ROCPRIM_400000_NS6detail17trampoline_kernelINS0_14default_configENS1_22reduce_config_selectorIfEEZNS1_11reduce_implILb1ES3_N6thrust23THRUST_200600_302600_NS11hip_rocprim26transform_input_iterator_tIfNS8_17counting_iteratorIiNS8_11use_defaultESC_SC_EE11estimate_piEEPffNS8_4plusIfEEEE10hipError_tPvRmT1_T2_T3_mT4_P12ihipStream_tbEUlT_E0_NS1_11comp_targetILNS1_3genE10ELNS1_11target_archE1201ELNS1_3gpuE5ELNS1_3repE0EEENS1_30default_config_static_selectorELNS0_4arch9wavefront6targetE1EEEvSM_,comdat
	.protected	_ZN7rocprim17ROCPRIM_400000_NS6detail17trampoline_kernelINS0_14default_configENS1_22reduce_config_selectorIfEEZNS1_11reduce_implILb1ES3_N6thrust23THRUST_200600_302600_NS11hip_rocprim26transform_input_iterator_tIfNS8_17counting_iteratorIiNS8_11use_defaultESC_SC_EE11estimate_piEEPffNS8_4plusIfEEEE10hipError_tPvRmT1_T2_T3_mT4_P12ihipStream_tbEUlT_E0_NS1_11comp_targetILNS1_3genE10ELNS1_11target_archE1201ELNS1_3gpuE5ELNS1_3repE0EEENS1_30default_config_static_selectorELNS0_4arch9wavefront6targetE1EEEvSM_ ; -- Begin function _ZN7rocprim17ROCPRIM_400000_NS6detail17trampoline_kernelINS0_14default_configENS1_22reduce_config_selectorIfEEZNS1_11reduce_implILb1ES3_N6thrust23THRUST_200600_302600_NS11hip_rocprim26transform_input_iterator_tIfNS8_17counting_iteratorIiNS8_11use_defaultESC_SC_EE11estimate_piEEPffNS8_4plusIfEEEE10hipError_tPvRmT1_T2_T3_mT4_P12ihipStream_tbEUlT_E0_NS1_11comp_targetILNS1_3genE10ELNS1_11target_archE1201ELNS1_3gpuE5ELNS1_3repE0EEENS1_30default_config_static_selectorELNS0_4arch9wavefront6targetE1EEEvSM_
	.globl	_ZN7rocprim17ROCPRIM_400000_NS6detail17trampoline_kernelINS0_14default_configENS1_22reduce_config_selectorIfEEZNS1_11reduce_implILb1ES3_N6thrust23THRUST_200600_302600_NS11hip_rocprim26transform_input_iterator_tIfNS8_17counting_iteratorIiNS8_11use_defaultESC_SC_EE11estimate_piEEPffNS8_4plusIfEEEE10hipError_tPvRmT1_T2_T3_mT4_P12ihipStream_tbEUlT_E0_NS1_11comp_targetILNS1_3genE10ELNS1_11target_archE1201ELNS1_3gpuE5ELNS1_3repE0EEENS1_30default_config_static_selectorELNS0_4arch9wavefront6targetE1EEEvSM_
	.p2align	8
	.type	_ZN7rocprim17ROCPRIM_400000_NS6detail17trampoline_kernelINS0_14default_configENS1_22reduce_config_selectorIfEEZNS1_11reduce_implILb1ES3_N6thrust23THRUST_200600_302600_NS11hip_rocprim26transform_input_iterator_tIfNS8_17counting_iteratorIiNS8_11use_defaultESC_SC_EE11estimate_piEEPffNS8_4plusIfEEEE10hipError_tPvRmT1_T2_T3_mT4_P12ihipStream_tbEUlT_E0_NS1_11comp_targetILNS1_3genE10ELNS1_11target_archE1201ELNS1_3gpuE5ELNS1_3repE0EEENS1_30default_config_static_selectorELNS0_4arch9wavefront6targetE1EEEvSM_,@function
_ZN7rocprim17ROCPRIM_400000_NS6detail17trampoline_kernelINS0_14default_configENS1_22reduce_config_selectorIfEEZNS1_11reduce_implILb1ES3_N6thrust23THRUST_200600_302600_NS11hip_rocprim26transform_input_iterator_tIfNS8_17counting_iteratorIiNS8_11use_defaultESC_SC_EE11estimate_piEEPffNS8_4plusIfEEEE10hipError_tPvRmT1_T2_T3_mT4_P12ihipStream_tbEUlT_E0_NS1_11comp_targetILNS1_3genE10ELNS1_11target_archE1201ELNS1_3gpuE5ELNS1_3repE0EEENS1_30default_config_static_selectorELNS0_4arch9wavefront6targetE1EEEvSM_: ; @_ZN7rocprim17ROCPRIM_400000_NS6detail17trampoline_kernelINS0_14default_configENS1_22reduce_config_selectorIfEEZNS1_11reduce_implILb1ES3_N6thrust23THRUST_200600_302600_NS11hip_rocprim26transform_input_iterator_tIfNS8_17counting_iteratorIiNS8_11use_defaultESC_SC_EE11estimate_piEEPffNS8_4plusIfEEEE10hipError_tPvRmT1_T2_T3_mT4_P12ihipStream_tbEUlT_E0_NS1_11comp_targetILNS1_3genE10ELNS1_11target_archE1201ELNS1_3gpuE5ELNS1_3repE0EEENS1_30default_config_static_selectorELNS0_4arch9wavefront6targetE1EEEvSM_
; %bb.0:
	.section	.rodata,"a",@progbits
	.p2align	6, 0x0
	.amdhsa_kernel _ZN7rocprim17ROCPRIM_400000_NS6detail17trampoline_kernelINS0_14default_configENS1_22reduce_config_selectorIfEEZNS1_11reduce_implILb1ES3_N6thrust23THRUST_200600_302600_NS11hip_rocprim26transform_input_iterator_tIfNS8_17counting_iteratorIiNS8_11use_defaultESC_SC_EE11estimate_piEEPffNS8_4plusIfEEEE10hipError_tPvRmT1_T2_T3_mT4_P12ihipStream_tbEUlT_E0_NS1_11comp_targetILNS1_3genE10ELNS1_11target_archE1201ELNS1_3gpuE5ELNS1_3repE0EEENS1_30default_config_static_selectorELNS0_4arch9wavefront6targetE1EEEvSM_
		.amdhsa_group_segment_fixed_size 0
		.amdhsa_private_segment_fixed_size 0
		.amdhsa_kernarg_size 56
		.amdhsa_user_sgpr_count 6
		.amdhsa_user_sgpr_private_segment_buffer 1
		.amdhsa_user_sgpr_dispatch_ptr 0
		.amdhsa_user_sgpr_queue_ptr 0
		.amdhsa_user_sgpr_kernarg_segment_ptr 1
		.amdhsa_user_sgpr_dispatch_id 0
		.amdhsa_user_sgpr_flat_scratch_init 0
		.amdhsa_user_sgpr_private_segment_size 0
		.amdhsa_uses_dynamic_stack 0
		.amdhsa_system_sgpr_private_segment_wavefront_offset 0
		.amdhsa_system_sgpr_workgroup_id_x 1
		.amdhsa_system_sgpr_workgroup_id_y 0
		.amdhsa_system_sgpr_workgroup_id_z 0
		.amdhsa_system_sgpr_workgroup_info 0
		.amdhsa_system_vgpr_workitem_id 0
		.amdhsa_next_free_vgpr 1
		.amdhsa_next_free_sgpr 0
		.amdhsa_reserve_vcc 0
		.amdhsa_reserve_flat_scratch 0
		.amdhsa_float_round_mode_32 0
		.amdhsa_float_round_mode_16_64 0
		.amdhsa_float_denorm_mode_32 3
		.amdhsa_float_denorm_mode_16_64 3
		.amdhsa_dx10_clamp 1
		.amdhsa_ieee_mode 1
		.amdhsa_fp16_overflow 0
		.amdhsa_exception_fp_ieee_invalid_op 0
		.amdhsa_exception_fp_denorm_src 0
		.amdhsa_exception_fp_ieee_div_zero 0
		.amdhsa_exception_fp_ieee_overflow 0
		.amdhsa_exception_fp_ieee_underflow 0
		.amdhsa_exception_fp_ieee_inexact 0
		.amdhsa_exception_int_div_zero 0
	.end_amdhsa_kernel
	.section	.text._ZN7rocprim17ROCPRIM_400000_NS6detail17trampoline_kernelINS0_14default_configENS1_22reduce_config_selectorIfEEZNS1_11reduce_implILb1ES3_N6thrust23THRUST_200600_302600_NS11hip_rocprim26transform_input_iterator_tIfNS8_17counting_iteratorIiNS8_11use_defaultESC_SC_EE11estimate_piEEPffNS8_4plusIfEEEE10hipError_tPvRmT1_T2_T3_mT4_P12ihipStream_tbEUlT_E0_NS1_11comp_targetILNS1_3genE10ELNS1_11target_archE1201ELNS1_3gpuE5ELNS1_3repE0EEENS1_30default_config_static_selectorELNS0_4arch9wavefront6targetE1EEEvSM_,"axG",@progbits,_ZN7rocprim17ROCPRIM_400000_NS6detail17trampoline_kernelINS0_14default_configENS1_22reduce_config_selectorIfEEZNS1_11reduce_implILb1ES3_N6thrust23THRUST_200600_302600_NS11hip_rocprim26transform_input_iterator_tIfNS8_17counting_iteratorIiNS8_11use_defaultESC_SC_EE11estimate_piEEPffNS8_4plusIfEEEE10hipError_tPvRmT1_T2_T3_mT4_P12ihipStream_tbEUlT_E0_NS1_11comp_targetILNS1_3genE10ELNS1_11target_archE1201ELNS1_3gpuE5ELNS1_3repE0EEENS1_30default_config_static_selectorELNS0_4arch9wavefront6targetE1EEEvSM_,comdat
.Lfunc_end23:
	.size	_ZN7rocprim17ROCPRIM_400000_NS6detail17trampoline_kernelINS0_14default_configENS1_22reduce_config_selectorIfEEZNS1_11reduce_implILb1ES3_N6thrust23THRUST_200600_302600_NS11hip_rocprim26transform_input_iterator_tIfNS8_17counting_iteratorIiNS8_11use_defaultESC_SC_EE11estimate_piEEPffNS8_4plusIfEEEE10hipError_tPvRmT1_T2_T3_mT4_P12ihipStream_tbEUlT_E0_NS1_11comp_targetILNS1_3genE10ELNS1_11target_archE1201ELNS1_3gpuE5ELNS1_3repE0EEENS1_30default_config_static_selectorELNS0_4arch9wavefront6targetE1EEEvSM_, .Lfunc_end23-_ZN7rocprim17ROCPRIM_400000_NS6detail17trampoline_kernelINS0_14default_configENS1_22reduce_config_selectorIfEEZNS1_11reduce_implILb1ES3_N6thrust23THRUST_200600_302600_NS11hip_rocprim26transform_input_iterator_tIfNS8_17counting_iteratorIiNS8_11use_defaultESC_SC_EE11estimate_piEEPffNS8_4plusIfEEEE10hipError_tPvRmT1_T2_T3_mT4_P12ihipStream_tbEUlT_E0_NS1_11comp_targetILNS1_3genE10ELNS1_11target_archE1201ELNS1_3gpuE5ELNS1_3repE0EEENS1_30default_config_static_selectorELNS0_4arch9wavefront6targetE1EEEvSM_
                                        ; -- End function
	.set _ZN7rocprim17ROCPRIM_400000_NS6detail17trampoline_kernelINS0_14default_configENS1_22reduce_config_selectorIfEEZNS1_11reduce_implILb1ES3_N6thrust23THRUST_200600_302600_NS11hip_rocprim26transform_input_iterator_tIfNS8_17counting_iteratorIiNS8_11use_defaultESC_SC_EE11estimate_piEEPffNS8_4plusIfEEEE10hipError_tPvRmT1_T2_T3_mT4_P12ihipStream_tbEUlT_E0_NS1_11comp_targetILNS1_3genE10ELNS1_11target_archE1201ELNS1_3gpuE5ELNS1_3repE0EEENS1_30default_config_static_selectorELNS0_4arch9wavefront6targetE1EEEvSM_.num_vgpr, 0
	.set _ZN7rocprim17ROCPRIM_400000_NS6detail17trampoline_kernelINS0_14default_configENS1_22reduce_config_selectorIfEEZNS1_11reduce_implILb1ES3_N6thrust23THRUST_200600_302600_NS11hip_rocprim26transform_input_iterator_tIfNS8_17counting_iteratorIiNS8_11use_defaultESC_SC_EE11estimate_piEEPffNS8_4plusIfEEEE10hipError_tPvRmT1_T2_T3_mT4_P12ihipStream_tbEUlT_E0_NS1_11comp_targetILNS1_3genE10ELNS1_11target_archE1201ELNS1_3gpuE5ELNS1_3repE0EEENS1_30default_config_static_selectorELNS0_4arch9wavefront6targetE1EEEvSM_.num_agpr, 0
	.set _ZN7rocprim17ROCPRIM_400000_NS6detail17trampoline_kernelINS0_14default_configENS1_22reduce_config_selectorIfEEZNS1_11reduce_implILb1ES3_N6thrust23THRUST_200600_302600_NS11hip_rocprim26transform_input_iterator_tIfNS8_17counting_iteratorIiNS8_11use_defaultESC_SC_EE11estimate_piEEPffNS8_4plusIfEEEE10hipError_tPvRmT1_T2_T3_mT4_P12ihipStream_tbEUlT_E0_NS1_11comp_targetILNS1_3genE10ELNS1_11target_archE1201ELNS1_3gpuE5ELNS1_3repE0EEENS1_30default_config_static_selectorELNS0_4arch9wavefront6targetE1EEEvSM_.numbered_sgpr, 0
	.set _ZN7rocprim17ROCPRIM_400000_NS6detail17trampoline_kernelINS0_14default_configENS1_22reduce_config_selectorIfEEZNS1_11reduce_implILb1ES3_N6thrust23THRUST_200600_302600_NS11hip_rocprim26transform_input_iterator_tIfNS8_17counting_iteratorIiNS8_11use_defaultESC_SC_EE11estimate_piEEPffNS8_4plusIfEEEE10hipError_tPvRmT1_T2_T3_mT4_P12ihipStream_tbEUlT_E0_NS1_11comp_targetILNS1_3genE10ELNS1_11target_archE1201ELNS1_3gpuE5ELNS1_3repE0EEENS1_30default_config_static_selectorELNS0_4arch9wavefront6targetE1EEEvSM_.num_named_barrier, 0
	.set _ZN7rocprim17ROCPRIM_400000_NS6detail17trampoline_kernelINS0_14default_configENS1_22reduce_config_selectorIfEEZNS1_11reduce_implILb1ES3_N6thrust23THRUST_200600_302600_NS11hip_rocprim26transform_input_iterator_tIfNS8_17counting_iteratorIiNS8_11use_defaultESC_SC_EE11estimate_piEEPffNS8_4plusIfEEEE10hipError_tPvRmT1_T2_T3_mT4_P12ihipStream_tbEUlT_E0_NS1_11comp_targetILNS1_3genE10ELNS1_11target_archE1201ELNS1_3gpuE5ELNS1_3repE0EEENS1_30default_config_static_selectorELNS0_4arch9wavefront6targetE1EEEvSM_.private_seg_size, 0
	.set _ZN7rocprim17ROCPRIM_400000_NS6detail17trampoline_kernelINS0_14default_configENS1_22reduce_config_selectorIfEEZNS1_11reduce_implILb1ES3_N6thrust23THRUST_200600_302600_NS11hip_rocprim26transform_input_iterator_tIfNS8_17counting_iteratorIiNS8_11use_defaultESC_SC_EE11estimate_piEEPffNS8_4plusIfEEEE10hipError_tPvRmT1_T2_T3_mT4_P12ihipStream_tbEUlT_E0_NS1_11comp_targetILNS1_3genE10ELNS1_11target_archE1201ELNS1_3gpuE5ELNS1_3repE0EEENS1_30default_config_static_selectorELNS0_4arch9wavefront6targetE1EEEvSM_.uses_vcc, 0
	.set _ZN7rocprim17ROCPRIM_400000_NS6detail17trampoline_kernelINS0_14default_configENS1_22reduce_config_selectorIfEEZNS1_11reduce_implILb1ES3_N6thrust23THRUST_200600_302600_NS11hip_rocprim26transform_input_iterator_tIfNS8_17counting_iteratorIiNS8_11use_defaultESC_SC_EE11estimate_piEEPffNS8_4plusIfEEEE10hipError_tPvRmT1_T2_T3_mT4_P12ihipStream_tbEUlT_E0_NS1_11comp_targetILNS1_3genE10ELNS1_11target_archE1201ELNS1_3gpuE5ELNS1_3repE0EEENS1_30default_config_static_selectorELNS0_4arch9wavefront6targetE1EEEvSM_.uses_flat_scratch, 0
	.set _ZN7rocprim17ROCPRIM_400000_NS6detail17trampoline_kernelINS0_14default_configENS1_22reduce_config_selectorIfEEZNS1_11reduce_implILb1ES3_N6thrust23THRUST_200600_302600_NS11hip_rocprim26transform_input_iterator_tIfNS8_17counting_iteratorIiNS8_11use_defaultESC_SC_EE11estimate_piEEPffNS8_4plusIfEEEE10hipError_tPvRmT1_T2_T3_mT4_P12ihipStream_tbEUlT_E0_NS1_11comp_targetILNS1_3genE10ELNS1_11target_archE1201ELNS1_3gpuE5ELNS1_3repE0EEENS1_30default_config_static_selectorELNS0_4arch9wavefront6targetE1EEEvSM_.has_dyn_sized_stack, 0
	.set _ZN7rocprim17ROCPRIM_400000_NS6detail17trampoline_kernelINS0_14default_configENS1_22reduce_config_selectorIfEEZNS1_11reduce_implILb1ES3_N6thrust23THRUST_200600_302600_NS11hip_rocprim26transform_input_iterator_tIfNS8_17counting_iteratorIiNS8_11use_defaultESC_SC_EE11estimate_piEEPffNS8_4plusIfEEEE10hipError_tPvRmT1_T2_T3_mT4_P12ihipStream_tbEUlT_E0_NS1_11comp_targetILNS1_3genE10ELNS1_11target_archE1201ELNS1_3gpuE5ELNS1_3repE0EEENS1_30default_config_static_selectorELNS0_4arch9wavefront6targetE1EEEvSM_.has_recursion, 0
	.set _ZN7rocprim17ROCPRIM_400000_NS6detail17trampoline_kernelINS0_14default_configENS1_22reduce_config_selectorIfEEZNS1_11reduce_implILb1ES3_N6thrust23THRUST_200600_302600_NS11hip_rocprim26transform_input_iterator_tIfNS8_17counting_iteratorIiNS8_11use_defaultESC_SC_EE11estimate_piEEPffNS8_4plusIfEEEE10hipError_tPvRmT1_T2_T3_mT4_P12ihipStream_tbEUlT_E0_NS1_11comp_targetILNS1_3genE10ELNS1_11target_archE1201ELNS1_3gpuE5ELNS1_3repE0EEENS1_30default_config_static_selectorELNS0_4arch9wavefront6targetE1EEEvSM_.has_indirect_call, 0
	.section	.AMDGPU.csdata,"",@progbits
; Kernel info:
; codeLenInByte = 0
; TotalNumSgprs: 4
; NumVgprs: 0
; ScratchSize: 0
; MemoryBound: 0
; FloatMode: 240
; IeeeMode: 1
; LDSByteSize: 0 bytes/workgroup (compile time only)
; SGPRBlocks: 0
; VGPRBlocks: 0
; NumSGPRsForWavesPerEU: 4
; NumVGPRsForWavesPerEU: 1
; Occupancy: 10
; WaveLimiterHint : 0
; COMPUTE_PGM_RSRC2:SCRATCH_EN: 0
; COMPUTE_PGM_RSRC2:USER_SGPR: 6
; COMPUTE_PGM_RSRC2:TRAP_HANDLER: 0
; COMPUTE_PGM_RSRC2:TGID_X_EN: 1
; COMPUTE_PGM_RSRC2:TGID_Y_EN: 0
; COMPUTE_PGM_RSRC2:TGID_Z_EN: 0
; COMPUTE_PGM_RSRC2:TIDIG_COMP_CNT: 0
	.section	.text._ZN7rocprim17ROCPRIM_400000_NS6detail17trampoline_kernelINS0_14default_configENS1_22reduce_config_selectorIfEEZNS1_11reduce_implILb1ES3_N6thrust23THRUST_200600_302600_NS11hip_rocprim26transform_input_iterator_tIfNS8_17counting_iteratorIiNS8_11use_defaultESC_SC_EE11estimate_piEEPffNS8_4plusIfEEEE10hipError_tPvRmT1_T2_T3_mT4_P12ihipStream_tbEUlT_E0_NS1_11comp_targetILNS1_3genE10ELNS1_11target_archE1200ELNS1_3gpuE4ELNS1_3repE0EEENS1_30default_config_static_selectorELNS0_4arch9wavefront6targetE1EEEvSM_,"axG",@progbits,_ZN7rocprim17ROCPRIM_400000_NS6detail17trampoline_kernelINS0_14default_configENS1_22reduce_config_selectorIfEEZNS1_11reduce_implILb1ES3_N6thrust23THRUST_200600_302600_NS11hip_rocprim26transform_input_iterator_tIfNS8_17counting_iteratorIiNS8_11use_defaultESC_SC_EE11estimate_piEEPffNS8_4plusIfEEEE10hipError_tPvRmT1_T2_T3_mT4_P12ihipStream_tbEUlT_E0_NS1_11comp_targetILNS1_3genE10ELNS1_11target_archE1200ELNS1_3gpuE4ELNS1_3repE0EEENS1_30default_config_static_selectorELNS0_4arch9wavefront6targetE1EEEvSM_,comdat
	.protected	_ZN7rocprim17ROCPRIM_400000_NS6detail17trampoline_kernelINS0_14default_configENS1_22reduce_config_selectorIfEEZNS1_11reduce_implILb1ES3_N6thrust23THRUST_200600_302600_NS11hip_rocprim26transform_input_iterator_tIfNS8_17counting_iteratorIiNS8_11use_defaultESC_SC_EE11estimate_piEEPffNS8_4plusIfEEEE10hipError_tPvRmT1_T2_T3_mT4_P12ihipStream_tbEUlT_E0_NS1_11comp_targetILNS1_3genE10ELNS1_11target_archE1200ELNS1_3gpuE4ELNS1_3repE0EEENS1_30default_config_static_selectorELNS0_4arch9wavefront6targetE1EEEvSM_ ; -- Begin function _ZN7rocprim17ROCPRIM_400000_NS6detail17trampoline_kernelINS0_14default_configENS1_22reduce_config_selectorIfEEZNS1_11reduce_implILb1ES3_N6thrust23THRUST_200600_302600_NS11hip_rocprim26transform_input_iterator_tIfNS8_17counting_iteratorIiNS8_11use_defaultESC_SC_EE11estimate_piEEPffNS8_4plusIfEEEE10hipError_tPvRmT1_T2_T3_mT4_P12ihipStream_tbEUlT_E0_NS1_11comp_targetILNS1_3genE10ELNS1_11target_archE1200ELNS1_3gpuE4ELNS1_3repE0EEENS1_30default_config_static_selectorELNS0_4arch9wavefront6targetE1EEEvSM_
	.globl	_ZN7rocprim17ROCPRIM_400000_NS6detail17trampoline_kernelINS0_14default_configENS1_22reduce_config_selectorIfEEZNS1_11reduce_implILb1ES3_N6thrust23THRUST_200600_302600_NS11hip_rocprim26transform_input_iterator_tIfNS8_17counting_iteratorIiNS8_11use_defaultESC_SC_EE11estimate_piEEPffNS8_4plusIfEEEE10hipError_tPvRmT1_T2_T3_mT4_P12ihipStream_tbEUlT_E0_NS1_11comp_targetILNS1_3genE10ELNS1_11target_archE1200ELNS1_3gpuE4ELNS1_3repE0EEENS1_30default_config_static_selectorELNS0_4arch9wavefront6targetE1EEEvSM_
	.p2align	8
	.type	_ZN7rocprim17ROCPRIM_400000_NS6detail17trampoline_kernelINS0_14default_configENS1_22reduce_config_selectorIfEEZNS1_11reduce_implILb1ES3_N6thrust23THRUST_200600_302600_NS11hip_rocprim26transform_input_iterator_tIfNS8_17counting_iteratorIiNS8_11use_defaultESC_SC_EE11estimate_piEEPffNS8_4plusIfEEEE10hipError_tPvRmT1_T2_T3_mT4_P12ihipStream_tbEUlT_E0_NS1_11comp_targetILNS1_3genE10ELNS1_11target_archE1200ELNS1_3gpuE4ELNS1_3repE0EEENS1_30default_config_static_selectorELNS0_4arch9wavefront6targetE1EEEvSM_,@function
_ZN7rocprim17ROCPRIM_400000_NS6detail17trampoline_kernelINS0_14default_configENS1_22reduce_config_selectorIfEEZNS1_11reduce_implILb1ES3_N6thrust23THRUST_200600_302600_NS11hip_rocprim26transform_input_iterator_tIfNS8_17counting_iteratorIiNS8_11use_defaultESC_SC_EE11estimate_piEEPffNS8_4plusIfEEEE10hipError_tPvRmT1_T2_T3_mT4_P12ihipStream_tbEUlT_E0_NS1_11comp_targetILNS1_3genE10ELNS1_11target_archE1200ELNS1_3gpuE4ELNS1_3repE0EEENS1_30default_config_static_selectorELNS0_4arch9wavefront6targetE1EEEvSM_: ; @_ZN7rocprim17ROCPRIM_400000_NS6detail17trampoline_kernelINS0_14default_configENS1_22reduce_config_selectorIfEEZNS1_11reduce_implILb1ES3_N6thrust23THRUST_200600_302600_NS11hip_rocprim26transform_input_iterator_tIfNS8_17counting_iteratorIiNS8_11use_defaultESC_SC_EE11estimate_piEEPffNS8_4plusIfEEEE10hipError_tPvRmT1_T2_T3_mT4_P12ihipStream_tbEUlT_E0_NS1_11comp_targetILNS1_3genE10ELNS1_11target_archE1200ELNS1_3gpuE4ELNS1_3repE0EEENS1_30default_config_static_selectorELNS0_4arch9wavefront6targetE1EEEvSM_
; %bb.0:
	.section	.rodata,"a",@progbits
	.p2align	6, 0x0
	.amdhsa_kernel _ZN7rocprim17ROCPRIM_400000_NS6detail17trampoline_kernelINS0_14default_configENS1_22reduce_config_selectorIfEEZNS1_11reduce_implILb1ES3_N6thrust23THRUST_200600_302600_NS11hip_rocprim26transform_input_iterator_tIfNS8_17counting_iteratorIiNS8_11use_defaultESC_SC_EE11estimate_piEEPffNS8_4plusIfEEEE10hipError_tPvRmT1_T2_T3_mT4_P12ihipStream_tbEUlT_E0_NS1_11comp_targetILNS1_3genE10ELNS1_11target_archE1200ELNS1_3gpuE4ELNS1_3repE0EEENS1_30default_config_static_selectorELNS0_4arch9wavefront6targetE1EEEvSM_
		.amdhsa_group_segment_fixed_size 0
		.amdhsa_private_segment_fixed_size 0
		.amdhsa_kernarg_size 56
		.amdhsa_user_sgpr_count 6
		.amdhsa_user_sgpr_private_segment_buffer 1
		.amdhsa_user_sgpr_dispatch_ptr 0
		.amdhsa_user_sgpr_queue_ptr 0
		.amdhsa_user_sgpr_kernarg_segment_ptr 1
		.amdhsa_user_sgpr_dispatch_id 0
		.amdhsa_user_sgpr_flat_scratch_init 0
		.amdhsa_user_sgpr_private_segment_size 0
		.amdhsa_uses_dynamic_stack 0
		.amdhsa_system_sgpr_private_segment_wavefront_offset 0
		.amdhsa_system_sgpr_workgroup_id_x 1
		.amdhsa_system_sgpr_workgroup_id_y 0
		.amdhsa_system_sgpr_workgroup_id_z 0
		.amdhsa_system_sgpr_workgroup_info 0
		.amdhsa_system_vgpr_workitem_id 0
		.amdhsa_next_free_vgpr 1
		.amdhsa_next_free_sgpr 0
		.amdhsa_reserve_vcc 0
		.amdhsa_reserve_flat_scratch 0
		.amdhsa_float_round_mode_32 0
		.amdhsa_float_round_mode_16_64 0
		.amdhsa_float_denorm_mode_32 3
		.amdhsa_float_denorm_mode_16_64 3
		.amdhsa_dx10_clamp 1
		.amdhsa_ieee_mode 1
		.amdhsa_fp16_overflow 0
		.amdhsa_exception_fp_ieee_invalid_op 0
		.amdhsa_exception_fp_denorm_src 0
		.amdhsa_exception_fp_ieee_div_zero 0
		.amdhsa_exception_fp_ieee_overflow 0
		.amdhsa_exception_fp_ieee_underflow 0
		.amdhsa_exception_fp_ieee_inexact 0
		.amdhsa_exception_int_div_zero 0
	.end_amdhsa_kernel
	.section	.text._ZN7rocprim17ROCPRIM_400000_NS6detail17trampoline_kernelINS0_14default_configENS1_22reduce_config_selectorIfEEZNS1_11reduce_implILb1ES3_N6thrust23THRUST_200600_302600_NS11hip_rocprim26transform_input_iterator_tIfNS8_17counting_iteratorIiNS8_11use_defaultESC_SC_EE11estimate_piEEPffNS8_4plusIfEEEE10hipError_tPvRmT1_T2_T3_mT4_P12ihipStream_tbEUlT_E0_NS1_11comp_targetILNS1_3genE10ELNS1_11target_archE1200ELNS1_3gpuE4ELNS1_3repE0EEENS1_30default_config_static_selectorELNS0_4arch9wavefront6targetE1EEEvSM_,"axG",@progbits,_ZN7rocprim17ROCPRIM_400000_NS6detail17trampoline_kernelINS0_14default_configENS1_22reduce_config_selectorIfEEZNS1_11reduce_implILb1ES3_N6thrust23THRUST_200600_302600_NS11hip_rocprim26transform_input_iterator_tIfNS8_17counting_iteratorIiNS8_11use_defaultESC_SC_EE11estimate_piEEPffNS8_4plusIfEEEE10hipError_tPvRmT1_T2_T3_mT4_P12ihipStream_tbEUlT_E0_NS1_11comp_targetILNS1_3genE10ELNS1_11target_archE1200ELNS1_3gpuE4ELNS1_3repE0EEENS1_30default_config_static_selectorELNS0_4arch9wavefront6targetE1EEEvSM_,comdat
.Lfunc_end24:
	.size	_ZN7rocprim17ROCPRIM_400000_NS6detail17trampoline_kernelINS0_14default_configENS1_22reduce_config_selectorIfEEZNS1_11reduce_implILb1ES3_N6thrust23THRUST_200600_302600_NS11hip_rocprim26transform_input_iterator_tIfNS8_17counting_iteratorIiNS8_11use_defaultESC_SC_EE11estimate_piEEPffNS8_4plusIfEEEE10hipError_tPvRmT1_T2_T3_mT4_P12ihipStream_tbEUlT_E0_NS1_11comp_targetILNS1_3genE10ELNS1_11target_archE1200ELNS1_3gpuE4ELNS1_3repE0EEENS1_30default_config_static_selectorELNS0_4arch9wavefront6targetE1EEEvSM_, .Lfunc_end24-_ZN7rocprim17ROCPRIM_400000_NS6detail17trampoline_kernelINS0_14default_configENS1_22reduce_config_selectorIfEEZNS1_11reduce_implILb1ES3_N6thrust23THRUST_200600_302600_NS11hip_rocprim26transform_input_iterator_tIfNS8_17counting_iteratorIiNS8_11use_defaultESC_SC_EE11estimate_piEEPffNS8_4plusIfEEEE10hipError_tPvRmT1_T2_T3_mT4_P12ihipStream_tbEUlT_E0_NS1_11comp_targetILNS1_3genE10ELNS1_11target_archE1200ELNS1_3gpuE4ELNS1_3repE0EEENS1_30default_config_static_selectorELNS0_4arch9wavefront6targetE1EEEvSM_
                                        ; -- End function
	.set _ZN7rocprim17ROCPRIM_400000_NS6detail17trampoline_kernelINS0_14default_configENS1_22reduce_config_selectorIfEEZNS1_11reduce_implILb1ES3_N6thrust23THRUST_200600_302600_NS11hip_rocprim26transform_input_iterator_tIfNS8_17counting_iteratorIiNS8_11use_defaultESC_SC_EE11estimate_piEEPffNS8_4plusIfEEEE10hipError_tPvRmT1_T2_T3_mT4_P12ihipStream_tbEUlT_E0_NS1_11comp_targetILNS1_3genE10ELNS1_11target_archE1200ELNS1_3gpuE4ELNS1_3repE0EEENS1_30default_config_static_selectorELNS0_4arch9wavefront6targetE1EEEvSM_.num_vgpr, 0
	.set _ZN7rocprim17ROCPRIM_400000_NS6detail17trampoline_kernelINS0_14default_configENS1_22reduce_config_selectorIfEEZNS1_11reduce_implILb1ES3_N6thrust23THRUST_200600_302600_NS11hip_rocprim26transform_input_iterator_tIfNS8_17counting_iteratorIiNS8_11use_defaultESC_SC_EE11estimate_piEEPffNS8_4plusIfEEEE10hipError_tPvRmT1_T2_T3_mT4_P12ihipStream_tbEUlT_E0_NS1_11comp_targetILNS1_3genE10ELNS1_11target_archE1200ELNS1_3gpuE4ELNS1_3repE0EEENS1_30default_config_static_selectorELNS0_4arch9wavefront6targetE1EEEvSM_.num_agpr, 0
	.set _ZN7rocprim17ROCPRIM_400000_NS6detail17trampoline_kernelINS0_14default_configENS1_22reduce_config_selectorIfEEZNS1_11reduce_implILb1ES3_N6thrust23THRUST_200600_302600_NS11hip_rocprim26transform_input_iterator_tIfNS8_17counting_iteratorIiNS8_11use_defaultESC_SC_EE11estimate_piEEPffNS8_4plusIfEEEE10hipError_tPvRmT1_T2_T3_mT4_P12ihipStream_tbEUlT_E0_NS1_11comp_targetILNS1_3genE10ELNS1_11target_archE1200ELNS1_3gpuE4ELNS1_3repE0EEENS1_30default_config_static_selectorELNS0_4arch9wavefront6targetE1EEEvSM_.numbered_sgpr, 0
	.set _ZN7rocprim17ROCPRIM_400000_NS6detail17trampoline_kernelINS0_14default_configENS1_22reduce_config_selectorIfEEZNS1_11reduce_implILb1ES3_N6thrust23THRUST_200600_302600_NS11hip_rocprim26transform_input_iterator_tIfNS8_17counting_iteratorIiNS8_11use_defaultESC_SC_EE11estimate_piEEPffNS8_4plusIfEEEE10hipError_tPvRmT1_T2_T3_mT4_P12ihipStream_tbEUlT_E0_NS1_11comp_targetILNS1_3genE10ELNS1_11target_archE1200ELNS1_3gpuE4ELNS1_3repE0EEENS1_30default_config_static_selectorELNS0_4arch9wavefront6targetE1EEEvSM_.num_named_barrier, 0
	.set _ZN7rocprim17ROCPRIM_400000_NS6detail17trampoline_kernelINS0_14default_configENS1_22reduce_config_selectorIfEEZNS1_11reduce_implILb1ES3_N6thrust23THRUST_200600_302600_NS11hip_rocprim26transform_input_iterator_tIfNS8_17counting_iteratorIiNS8_11use_defaultESC_SC_EE11estimate_piEEPffNS8_4plusIfEEEE10hipError_tPvRmT1_T2_T3_mT4_P12ihipStream_tbEUlT_E0_NS1_11comp_targetILNS1_3genE10ELNS1_11target_archE1200ELNS1_3gpuE4ELNS1_3repE0EEENS1_30default_config_static_selectorELNS0_4arch9wavefront6targetE1EEEvSM_.private_seg_size, 0
	.set _ZN7rocprim17ROCPRIM_400000_NS6detail17trampoline_kernelINS0_14default_configENS1_22reduce_config_selectorIfEEZNS1_11reduce_implILb1ES3_N6thrust23THRUST_200600_302600_NS11hip_rocprim26transform_input_iterator_tIfNS8_17counting_iteratorIiNS8_11use_defaultESC_SC_EE11estimate_piEEPffNS8_4plusIfEEEE10hipError_tPvRmT1_T2_T3_mT4_P12ihipStream_tbEUlT_E0_NS1_11comp_targetILNS1_3genE10ELNS1_11target_archE1200ELNS1_3gpuE4ELNS1_3repE0EEENS1_30default_config_static_selectorELNS0_4arch9wavefront6targetE1EEEvSM_.uses_vcc, 0
	.set _ZN7rocprim17ROCPRIM_400000_NS6detail17trampoline_kernelINS0_14default_configENS1_22reduce_config_selectorIfEEZNS1_11reduce_implILb1ES3_N6thrust23THRUST_200600_302600_NS11hip_rocprim26transform_input_iterator_tIfNS8_17counting_iteratorIiNS8_11use_defaultESC_SC_EE11estimate_piEEPffNS8_4plusIfEEEE10hipError_tPvRmT1_T2_T3_mT4_P12ihipStream_tbEUlT_E0_NS1_11comp_targetILNS1_3genE10ELNS1_11target_archE1200ELNS1_3gpuE4ELNS1_3repE0EEENS1_30default_config_static_selectorELNS0_4arch9wavefront6targetE1EEEvSM_.uses_flat_scratch, 0
	.set _ZN7rocprim17ROCPRIM_400000_NS6detail17trampoline_kernelINS0_14default_configENS1_22reduce_config_selectorIfEEZNS1_11reduce_implILb1ES3_N6thrust23THRUST_200600_302600_NS11hip_rocprim26transform_input_iterator_tIfNS8_17counting_iteratorIiNS8_11use_defaultESC_SC_EE11estimate_piEEPffNS8_4plusIfEEEE10hipError_tPvRmT1_T2_T3_mT4_P12ihipStream_tbEUlT_E0_NS1_11comp_targetILNS1_3genE10ELNS1_11target_archE1200ELNS1_3gpuE4ELNS1_3repE0EEENS1_30default_config_static_selectorELNS0_4arch9wavefront6targetE1EEEvSM_.has_dyn_sized_stack, 0
	.set _ZN7rocprim17ROCPRIM_400000_NS6detail17trampoline_kernelINS0_14default_configENS1_22reduce_config_selectorIfEEZNS1_11reduce_implILb1ES3_N6thrust23THRUST_200600_302600_NS11hip_rocprim26transform_input_iterator_tIfNS8_17counting_iteratorIiNS8_11use_defaultESC_SC_EE11estimate_piEEPffNS8_4plusIfEEEE10hipError_tPvRmT1_T2_T3_mT4_P12ihipStream_tbEUlT_E0_NS1_11comp_targetILNS1_3genE10ELNS1_11target_archE1200ELNS1_3gpuE4ELNS1_3repE0EEENS1_30default_config_static_selectorELNS0_4arch9wavefront6targetE1EEEvSM_.has_recursion, 0
	.set _ZN7rocprim17ROCPRIM_400000_NS6detail17trampoline_kernelINS0_14default_configENS1_22reduce_config_selectorIfEEZNS1_11reduce_implILb1ES3_N6thrust23THRUST_200600_302600_NS11hip_rocprim26transform_input_iterator_tIfNS8_17counting_iteratorIiNS8_11use_defaultESC_SC_EE11estimate_piEEPffNS8_4plusIfEEEE10hipError_tPvRmT1_T2_T3_mT4_P12ihipStream_tbEUlT_E0_NS1_11comp_targetILNS1_3genE10ELNS1_11target_archE1200ELNS1_3gpuE4ELNS1_3repE0EEENS1_30default_config_static_selectorELNS0_4arch9wavefront6targetE1EEEvSM_.has_indirect_call, 0
	.section	.AMDGPU.csdata,"",@progbits
; Kernel info:
; codeLenInByte = 0
; TotalNumSgprs: 4
; NumVgprs: 0
; ScratchSize: 0
; MemoryBound: 0
; FloatMode: 240
; IeeeMode: 1
; LDSByteSize: 0 bytes/workgroup (compile time only)
; SGPRBlocks: 0
; VGPRBlocks: 0
; NumSGPRsForWavesPerEU: 4
; NumVGPRsForWavesPerEU: 1
; Occupancy: 10
; WaveLimiterHint : 0
; COMPUTE_PGM_RSRC2:SCRATCH_EN: 0
; COMPUTE_PGM_RSRC2:USER_SGPR: 6
; COMPUTE_PGM_RSRC2:TRAP_HANDLER: 0
; COMPUTE_PGM_RSRC2:TGID_X_EN: 1
; COMPUTE_PGM_RSRC2:TGID_Y_EN: 0
; COMPUTE_PGM_RSRC2:TGID_Z_EN: 0
; COMPUTE_PGM_RSRC2:TIDIG_COMP_CNT: 0
	.section	.text._ZN7rocprim17ROCPRIM_400000_NS6detail17trampoline_kernelINS0_14default_configENS1_22reduce_config_selectorIfEEZNS1_11reduce_implILb1ES3_N6thrust23THRUST_200600_302600_NS11hip_rocprim26transform_input_iterator_tIfNS8_17counting_iteratorIiNS8_11use_defaultESC_SC_EE11estimate_piEEPffNS8_4plusIfEEEE10hipError_tPvRmT1_T2_T3_mT4_P12ihipStream_tbEUlT_E0_NS1_11comp_targetILNS1_3genE9ELNS1_11target_archE1100ELNS1_3gpuE3ELNS1_3repE0EEENS1_30default_config_static_selectorELNS0_4arch9wavefront6targetE1EEEvSM_,"axG",@progbits,_ZN7rocprim17ROCPRIM_400000_NS6detail17trampoline_kernelINS0_14default_configENS1_22reduce_config_selectorIfEEZNS1_11reduce_implILb1ES3_N6thrust23THRUST_200600_302600_NS11hip_rocprim26transform_input_iterator_tIfNS8_17counting_iteratorIiNS8_11use_defaultESC_SC_EE11estimate_piEEPffNS8_4plusIfEEEE10hipError_tPvRmT1_T2_T3_mT4_P12ihipStream_tbEUlT_E0_NS1_11comp_targetILNS1_3genE9ELNS1_11target_archE1100ELNS1_3gpuE3ELNS1_3repE0EEENS1_30default_config_static_selectorELNS0_4arch9wavefront6targetE1EEEvSM_,comdat
	.protected	_ZN7rocprim17ROCPRIM_400000_NS6detail17trampoline_kernelINS0_14default_configENS1_22reduce_config_selectorIfEEZNS1_11reduce_implILb1ES3_N6thrust23THRUST_200600_302600_NS11hip_rocprim26transform_input_iterator_tIfNS8_17counting_iteratorIiNS8_11use_defaultESC_SC_EE11estimate_piEEPffNS8_4plusIfEEEE10hipError_tPvRmT1_T2_T3_mT4_P12ihipStream_tbEUlT_E0_NS1_11comp_targetILNS1_3genE9ELNS1_11target_archE1100ELNS1_3gpuE3ELNS1_3repE0EEENS1_30default_config_static_selectorELNS0_4arch9wavefront6targetE1EEEvSM_ ; -- Begin function _ZN7rocprim17ROCPRIM_400000_NS6detail17trampoline_kernelINS0_14default_configENS1_22reduce_config_selectorIfEEZNS1_11reduce_implILb1ES3_N6thrust23THRUST_200600_302600_NS11hip_rocprim26transform_input_iterator_tIfNS8_17counting_iteratorIiNS8_11use_defaultESC_SC_EE11estimate_piEEPffNS8_4plusIfEEEE10hipError_tPvRmT1_T2_T3_mT4_P12ihipStream_tbEUlT_E0_NS1_11comp_targetILNS1_3genE9ELNS1_11target_archE1100ELNS1_3gpuE3ELNS1_3repE0EEENS1_30default_config_static_selectorELNS0_4arch9wavefront6targetE1EEEvSM_
	.globl	_ZN7rocprim17ROCPRIM_400000_NS6detail17trampoline_kernelINS0_14default_configENS1_22reduce_config_selectorIfEEZNS1_11reduce_implILb1ES3_N6thrust23THRUST_200600_302600_NS11hip_rocprim26transform_input_iterator_tIfNS8_17counting_iteratorIiNS8_11use_defaultESC_SC_EE11estimate_piEEPffNS8_4plusIfEEEE10hipError_tPvRmT1_T2_T3_mT4_P12ihipStream_tbEUlT_E0_NS1_11comp_targetILNS1_3genE9ELNS1_11target_archE1100ELNS1_3gpuE3ELNS1_3repE0EEENS1_30default_config_static_selectorELNS0_4arch9wavefront6targetE1EEEvSM_
	.p2align	8
	.type	_ZN7rocprim17ROCPRIM_400000_NS6detail17trampoline_kernelINS0_14default_configENS1_22reduce_config_selectorIfEEZNS1_11reduce_implILb1ES3_N6thrust23THRUST_200600_302600_NS11hip_rocprim26transform_input_iterator_tIfNS8_17counting_iteratorIiNS8_11use_defaultESC_SC_EE11estimate_piEEPffNS8_4plusIfEEEE10hipError_tPvRmT1_T2_T3_mT4_P12ihipStream_tbEUlT_E0_NS1_11comp_targetILNS1_3genE9ELNS1_11target_archE1100ELNS1_3gpuE3ELNS1_3repE0EEENS1_30default_config_static_selectorELNS0_4arch9wavefront6targetE1EEEvSM_,@function
_ZN7rocprim17ROCPRIM_400000_NS6detail17trampoline_kernelINS0_14default_configENS1_22reduce_config_selectorIfEEZNS1_11reduce_implILb1ES3_N6thrust23THRUST_200600_302600_NS11hip_rocprim26transform_input_iterator_tIfNS8_17counting_iteratorIiNS8_11use_defaultESC_SC_EE11estimate_piEEPffNS8_4plusIfEEEE10hipError_tPvRmT1_T2_T3_mT4_P12ihipStream_tbEUlT_E0_NS1_11comp_targetILNS1_3genE9ELNS1_11target_archE1100ELNS1_3gpuE3ELNS1_3repE0EEENS1_30default_config_static_selectorELNS0_4arch9wavefront6targetE1EEEvSM_: ; @_ZN7rocprim17ROCPRIM_400000_NS6detail17trampoline_kernelINS0_14default_configENS1_22reduce_config_selectorIfEEZNS1_11reduce_implILb1ES3_N6thrust23THRUST_200600_302600_NS11hip_rocprim26transform_input_iterator_tIfNS8_17counting_iteratorIiNS8_11use_defaultESC_SC_EE11estimate_piEEPffNS8_4plusIfEEEE10hipError_tPvRmT1_T2_T3_mT4_P12ihipStream_tbEUlT_E0_NS1_11comp_targetILNS1_3genE9ELNS1_11target_archE1100ELNS1_3gpuE3ELNS1_3repE0EEENS1_30default_config_static_selectorELNS0_4arch9wavefront6targetE1EEEvSM_
; %bb.0:
	.section	.rodata,"a",@progbits
	.p2align	6, 0x0
	.amdhsa_kernel _ZN7rocprim17ROCPRIM_400000_NS6detail17trampoline_kernelINS0_14default_configENS1_22reduce_config_selectorIfEEZNS1_11reduce_implILb1ES3_N6thrust23THRUST_200600_302600_NS11hip_rocprim26transform_input_iterator_tIfNS8_17counting_iteratorIiNS8_11use_defaultESC_SC_EE11estimate_piEEPffNS8_4plusIfEEEE10hipError_tPvRmT1_T2_T3_mT4_P12ihipStream_tbEUlT_E0_NS1_11comp_targetILNS1_3genE9ELNS1_11target_archE1100ELNS1_3gpuE3ELNS1_3repE0EEENS1_30default_config_static_selectorELNS0_4arch9wavefront6targetE1EEEvSM_
		.amdhsa_group_segment_fixed_size 0
		.amdhsa_private_segment_fixed_size 0
		.amdhsa_kernarg_size 56
		.amdhsa_user_sgpr_count 6
		.amdhsa_user_sgpr_private_segment_buffer 1
		.amdhsa_user_sgpr_dispatch_ptr 0
		.amdhsa_user_sgpr_queue_ptr 0
		.amdhsa_user_sgpr_kernarg_segment_ptr 1
		.amdhsa_user_sgpr_dispatch_id 0
		.amdhsa_user_sgpr_flat_scratch_init 0
		.amdhsa_user_sgpr_private_segment_size 0
		.amdhsa_uses_dynamic_stack 0
		.amdhsa_system_sgpr_private_segment_wavefront_offset 0
		.amdhsa_system_sgpr_workgroup_id_x 1
		.amdhsa_system_sgpr_workgroup_id_y 0
		.amdhsa_system_sgpr_workgroup_id_z 0
		.amdhsa_system_sgpr_workgroup_info 0
		.amdhsa_system_vgpr_workitem_id 0
		.amdhsa_next_free_vgpr 1
		.amdhsa_next_free_sgpr 0
		.amdhsa_reserve_vcc 0
		.amdhsa_reserve_flat_scratch 0
		.amdhsa_float_round_mode_32 0
		.amdhsa_float_round_mode_16_64 0
		.amdhsa_float_denorm_mode_32 3
		.amdhsa_float_denorm_mode_16_64 3
		.amdhsa_dx10_clamp 1
		.amdhsa_ieee_mode 1
		.amdhsa_fp16_overflow 0
		.amdhsa_exception_fp_ieee_invalid_op 0
		.amdhsa_exception_fp_denorm_src 0
		.amdhsa_exception_fp_ieee_div_zero 0
		.amdhsa_exception_fp_ieee_overflow 0
		.amdhsa_exception_fp_ieee_underflow 0
		.amdhsa_exception_fp_ieee_inexact 0
		.amdhsa_exception_int_div_zero 0
	.end_amdhsa_kernel
	.section	.text._ZN7rocprim17ROCPRIM_400000_NS6detail17trampoline_kernelINS0_14default_configENS1_22reduce_config_selectorIfEEZNS1_11reduce_implILb1ES3_N6thrust23THRUST_200600_302600_NS11hip_rocprim26transform_input_iterator_tIfNS8_17counting_iteratorIiNS8_11use_defaultESC_SC_EE11estimate_piEEPffNS8_4plusIfEEEE10hipError_tPvRmT1_T2_T3_mT4_P12ihipStream_tbEUlT_E0_NS1_11comp_targetILNS1_3genE9ELNS1_11target_archE1100ELNS1_3gpuE3ELNS1_3repE0EEENS1_30default_config_static_selectorELNS0_4arch9wavefront6targetE1EEEvSM_,"axG",@progbits,_ZN7rocprim17ROCPRIM_400000_NS6detail17trampoline_kernelINS0_14default_configENS1_22reduce_config_selectorIfEEZNS1_11reduce_implILb1ES3_N6thrust23THRUST_200600_302600_NS11hip_rocprim26transform_input_iterator_tIfNS8_17counting_iteratorIiNS8_11use_defaultESC_SC_EE11estimate_piEEPffNS8_4plusIfEEEE10hipError_tPvRmT1_T2_T3_mT4_P12ihipStream_tbEUlT_E0_NS1_11comp_targetILNS1_3genE9ELNS1_11target_archE1100ELNS1_3gpuE3ELNS1_3repE0EEENS1_30default_config_static_selectorELNS0_4arch9wavefront6targetE1EEEvSM_,comdat
.Lfunc_end25:
	.size	_ZN7rocprim17ROCPRIM_400000_NS6detail17trampoline_kernelINS0_14default_configENS1_22reduce_config_selectorIfEEZNS1_11reduce_implILb1ES3_N6thrust23THRUST_200600_302600_NS11hip_rocprim26transform_input_iterator_tIfNS8_17counting_iteratorIiNS8_11use_defaultESC_SC_EE11estimate_piEEPffNS8_4plusIfEEEE10hipError_tPvRmT1_T2_T3_mT4_P12ihipStream_tbEUlT_E0_NS1_11comp_targetILNS1_3genE9ELNS1_11target_archE1100ELNS1_3gpuE3ELNS1_3repE0EEENS1_30default_config_static_selectorELNS0_4arch9wavefront6targetE1EEEvSM_, .Lfunc_end25-_ZN7rocprim17ROCPRIM_400000_NS6detail17trampoline_kernelINS0_14default_configENS1_22reduce_config_selectorIfEEZNS1_11reduce_implILb1ES3_N6thrust23THRUST_200600_302600_NS11hip_rocprim26transform_input_iterator_tIfNS8_17counting_iteratorIiNS8_11use_defaultESC_SC_EE11estimate_piEEPffNS8_4plusIfEEEE10hipError_tPvRmT1_T2_T3_mT4_P12ihipStream_tbEUlT_E0_NS1_11comp_targetILNS1_3genE9ELNS1_11target_archE1100ELNS1_3gpuE3ELNS1_3repE0EEENS1_30default_config_static_selectorELNS0_4arch9wavefront6targetE1EEEvSM_
                                        ; -- End function
	.set _ZN7rocprim17ROCPRIM_400000_NS6detail17trampoline_kernelINS0_14default_configENS1_22reduce_config_selectorIfEEZNS1_11reduce_implILb1ES3_N6thrust23THRUST_200600_302600_NS11hip_rocprim26transform_input_iterator_tIfNS8_17counting_iteratorIiNS8_11use_defaultESC_SC_EE11estimate_piEEPffNS8_4plusIfEEEE10hipError_tPvRmT1_T2_T3_mT4_P12ihipStream_tbEUlT_E0_NS1_11comp_targetILNS1_3genE9ELNS1_11target_archE1100ELNS1_3gpuE3ELNS1_3repE0EEENS1_30default_config_static_selectorELNS0_4arch9wavefront6targetE1EEEvSM_.num_vgpr, 0
	.set _ZN7rocprim17ROCPRIM_400000_NS6detail17trampoline_kernelINS0_14default_configENS1_22reduce_config_selectorIfEEZNS1_11reduce_implILb1ES3_N6thrust23THRUST_200600_302600_NS11hip_rocprim26transform_input_iterator_tIfNS8_17counting_iteratorIiNS8_11use_defaultESC_SC_EE11estimate_piEEPffNS8_4plusIfEEEE10hipError_tPvRmT1_T2_T3_mT4_P12ihipStream_tbEUlT_E0_NS1_11comp_targetILNS1_3genE9ELNS1_11target_archE1100ELNS1_3gpuE3ELNS1_3repE0EEENS1_30default_config_static_selectorELNS0_4arch9wavefront6targetE1EEEvSM_.num_agpr, 0
	.set _ZN7rocprim17ROCPRIM_400000_NS6detail17trampoline_kernelINS0_14default_configENS1_22reduce_config_selectorIfEEZNS1_11reduce_implILb1ES3_N6thrust23THRUST_200600_302600_NS11hip_rocprim26transform_input_iterator_tIfNS8_17counting_iteratorIiNS8_11use_defaultESC_SC_EE11estimate_piEEPffNS8_4plusIfEEEE10hipError_tPvRmT1_T2_T3_mT4_P12ihipStream_tbEUlT_E0_NS1_11comp_targetILNS1_3genE9ELNS1_11target_archE1100ELNS1_3gpuE3ELNS1_3repE0EEENS1_30default_config_static_selectorELNS0_4arch9wavefront6targetE1EEEvSM_.numbered_sgpr, 0
	.set _ZN7rocprim17ROCPRIM_400000_NS6detail17trampoline_kernelINS0_14default_configENS1_22reduce_config_selectorIfEEZNS1_11reduce_implILb1ES3_N6thrust23THRUST_200600_302600_NS11hip_rocprim26transform_input_iterator_tIfNS8_17counting_iteratorIiNS8_11use_defaultESC_SC_EE11estimate_piEEPffNS8_4plusIfEEEE10hipError_tPvRmT1_T2_T3_mT4_P12ihipStream_tbEUlT_E0_NS1_11comp_targetILNS1_3genE9ELNS1_11target_archE1100ELNS1_3gpuE3ELNS1_3repE0EEENS1_30default_config_static_selectorELNS0_4arch9wavefront6targetE1EEEvSM_.num_named_barrier, 0
	.set _ZN7rocprim17ROCPRIM_400000_NS6detail17trampoline_kernelINS0_14default_configENS1_22reduce_config_selectorIfEEZNS1_11reduce_implILb1ES3_N6thrust23THRUST_200600_302600_NS11hip_rocprim26transform_input_iterator_tIfNS8_17counting_iteratorIiNS8_11use_defaultESC_SC_EE11estimate_piEEPffNS8_4plusIfEEEE10hipError_tPvRmT1_T2_T3_mT4_P12ihipStream_tbEUlT_E0_NS1_11comp_targetILNS1_3genE9ELNS1_11target_archE1100ELNS1_3gpuE3ELNS1_3repE0EEENS1_30default_config_static_selectorELNS0_4arch9wavefront6targetE1EEEvSM_.private_seg_size, 0
	.set _ZN7rocprim17ROCPRIM_400000_NS6detail17trampoline_kernelINS0_14default_configENS1_22reduce_config_selectorIfEEZNS1_11reduce_implILb1ES3_N6thrust23THRUST_200600_302600_NS11hip_rocprim26transform_input_iterator_tIfNS8_17counting_iteratorIiNS8_11use_defaultESC_SC_EE11estimate_piEEPffNS8_4plusIfEEEE10hipError_tPvRmT1_T2_T3_mT4_P12ihipStream_tbEUlT_E0_NS1_11comp_targetILNS1_3genE9ELNS1_11target_archE1100ELNS1_3gpuE3ELNS1_3repE0EEENS1_30default_config_static_selectorELNS0_4arch9wavefront6targetE1EEEvSM_.uses_vcc, 0
	.set _ZN7rocprim17ROCPRIM_400000_NS6detail17trampoline_kernelINS0_14default_configENS1_22reduce_config_selectorIfEEZNS1_11reduce_implILb1ES3_N6thrust23THRUST_200600_302600_NS11hip_rocprim26transform_input_iterator_tIfNS8_17counting_iteratorIiNS8_11use_defaultESC_SC_EE11estimate_piEEPffNS8_4plusIfEEEE10hipError_tPvRmT1_T2_T3_mT4_P12ihipStream_tbEUlT_E0_NS1_11comp_targetILNS1_3genE9ELNS1_11target_archE1100ELNS1_3gpuE3ELNS1_3repE0EEENS1_30default_config_static_selectorELNS0_4arch9wavefront6targetE1EEEvSM_.uses_flat_scratch, 0
	.set _ZN7rocprim17ROCPRIM_400000_NS6detail17trampoline_kernelINS0_14default_configENS1_22reduce_config_selectorIfEEZNS1_11reduce_implILb1ES3_N6thrust23THRUST_200600_302600_NS11hip_rocprim26transform_input_iterator_tIfNS8_17counting_iteratorIiNS8_11use_defaultESC_SC_EE11estimate_piEEPffNS8_4plusIfEEEE10hipError_tPvRmT1_T2_T3_mT4_P12ihipStream_tbEUlT_E0_NS1_11comp_targetILNS1_3genE9ELNS1_11target_archE1100ELNS1_3gpuE3ELNS1_3repE0EEENS1_30default_config_static_selectorELNS0_4arch9wavefront6targetE1EEEvSM_.has_dyn_sized_stack, 0
	.set _ZN7rocprim17ROCPRIM_400000_NS6detail17trampoline_kernelINS0_14default_configENS1_22reduce_config_selectorIfEEZNS1_11reduce_implILb1ES3_N6thrust23THRUST_200600_302600_NS11hip_rocprim26transform_input_iterator_tIfNS8_17counting_iteratorIiNS8_11use_defaultESC_SC_EE11estimate_piEEPffNS8_4plusIfEEEE10hipError_tPvRmT1_T2_T3_mT4_P12ihipStream_tbEUlT_E0_NS1_11comp_targetILNS1_3genE9ELNS1_11target_archE1100ELNS1_3gpuE3ELNS1_3repE0EEENS1_30default_config_static_selectorELNS0_4arch9wavefront6targetE1EEEvSM_.has_recursion, 0
	.set _ZN7rocprim17ROCPRIM_400000_NS6detail17trampoline_kernelINS0_14default_configENS1_22reduce_config_selectorIfEEZNS1_11reduce_implILb1ES3_N6thrust23THRUST_200600_302600_NS11hip_rocprim26transform_input_iterator_tIfNS8_17counting_iteratorIiNS8_11use_defaultESC_SC_EE11estimate_piEEPffNS8_4plusIfEEEE10hipError_tPvRmT1_T2_T3_mT4_P12ihipStream_tbEUlT_E0_NS1_11comp_targetILNS1_3genE9ELNS1_11target_archE1100ELNS1_3gpuE3ELNS1_3repE0EEENS1_30default_config_static_selectorELNS0_4arch9wavefront6targetE1EEEvSM_.has_indirect_call, 0
	.section	.AMDGPU.csdata,"",@progbits
; Kernel info:
; codeLenInByte = 0
; TotalNumSgprs: 4
; NumVgprs: 0
; ScratchSize: 0
; MemoryBound: 0
; FloatMode: 240
; IeeeMode: 1
; LDSByteSize: 0 bytes/workgroup (compile time only)
; SGPRBlocks: 0
; VGPRBlocks: 0
; NumSGPRsForWavesPerEU: 4
; NumVGPRsForWavesPerEU: 1
; Occupancy: 10
; WaveLimiterHint : 0
; COMPUTE_PGM_RSRC2:SCRATCH_EN: 0
; COMPUTE_PGM_RSRC2:USER_SGPR: 6
; COMPUTE_PGM_RSRC2:TRAP_HANDLER: 0
; COMPUTE_PGM_RSRC2:TGID_X_EN: 1
; COMPUTE_PGM_RSRC2:TGID_Y_EN: 0
; COMPUTE_PGM_RSRC2:TGID_Z_EN: 0
; COMPUTE_PGM_RSRC2:TIDIG_COMP_CNT: 0
	.section	.text._ZN7rocprim17ROCPRIM_400000_NS6detail17trampoline_kernelINS0_14default_configENS1_22reduce_config_selectorIfEEZNS1_11reduce_implILb1ES3_N6thrust23THRUST_200600_302600_NS11hip_rocprim26transform_input_iterator_tIfNS8_17counting_iteratorIiNS8_11use_defaultESC_SC_EE11estimate_piEEPffNS8_4plusIfEEEE10hipError_tPvRmT1_T2_T3_mT4_P12ihipStream_tbEUlT_E0_NS1_11comp_targetILNS1_3genE8ELNS1_11target_archE1030ELNS1_3gpuE2ELNS1_3repE0EEENS1_30default_config_static_selectorELNS0_4arch9wavefront6targetE1EEEvSM_,"axG",@progbits,_ZN7rocprim17ROCPRIM_400000_NS6detail17trampoline_kernelINS0_14default_configENS1_22reduce_config_selectorIfEEZNS1_11reduce_implILb1ES3_N6thrust23THRUST_200600_302600_NS11hip_rocprim26transform_input_iterator_tIfNS8_17counting_iteratorIiNS8_11use_defaultESC_SC_EE11estimate_piEEPffNS8_4plusIfEEEE10hipError_tPvRmT1_T2_T3_mT4_P12ihipStream_tbEUlT_E0_NS1_11comp_targetILNS1_3genE8ELNS1_11target_archE1030ELNS1_3gpuE2ELNS1_3repE0EEENS1_30default_config_static_selectorELNS0_4arch9wavefront6targetE1EEEvSM_,comdat
	.protected	_ZN7rocprim17ROCPRIM_400000_NS6detail17trampoline_kernelINS0_14default_configENS1_22reduce_config_selectorIfEEZNS1_11reduce_implILb1ES3_N6thrust23THRUST_200600_302600_NS11hip_rocprim26transform_input_iterator_tIfNS8_17counting_iteratorIiNS8_11use_defaultESC_SC_EE11estimate_piEEPffNS8_4plusIfEEEE10hipError_tPvRmT1_T2_T3_mT4_P12ihipStream_tbEUlT_E0_NS1_11comp_targetILNS1_3genE8ELNS1_11target_archE1030ELNS1_3gpuE2ELNS1_3repE0EEENS1_30default_config_static_selectorELNS0_4arch9wavefront6targetE1EEEvSM_ ; -- Begin function _ZN7rocprim17ROCPRIM_400000_NS6detail17trampoline_kernelINS0_14default_configENS1_22reduce_config_selectorIfEEZNS1_11reduce_implILb1ES3_N6thrust23THRUST_200600_302600_NS11hip_rocprim26transform_input_iterator_tIfNS8_17counting_iteratorIiNS8_11use_defaultESC_SC_EE11estimate_piEEPffNS8_4plusIfEEEE10hipError_tPvRmT1_T2_T3_mT4_P12ihipStream_tbEUlT_E0_NS1_11comp_targetILNS1_3genE8ELNS1_11target_archE1030ELNS1_3gpuE2ELNS1_3repE0EEENS1_30default_config_static_selectorELNS0_4arch9wavefront6targetE1EEEvSM_
	.globl	_ZN7rocprim17ROCPRIM_400000_NS6detail17trampoline_kernelINS0_14default_configENS1_22reduce_config_selectorIfEEZNS1_11reduce_implILb1ES3_N6thrust23THRUST_200600_302600_NS11hip_rocprim26transform_input_iterator_tIfNS8_17counting_iteratorIiNS8_11use_defaultESC_SC_EE11estimate_piEEPffNS8_4plusIfEEEE10hipError_tPvRmT1_T2_T3_mT4_P12ihipStream_tbEUlT_E0_NS1_11comp_targetILNS1_3genE8ELNS1_11target_archE1030ELNS1_3gpuE2ELNS1_3repE0EEENS1_30default_config_static_selectorELNS0_4arch9wavefront6targetE1EEEvSM_
	.p2align	8
	.type	_ZN7rocprim17ROCPRIM_400000_NS6detail17trampoline_kernelINS0_14default_configENS1_22reduce_config_selectorIfEEZNS1_11reduce_implILb1ES3_N6thrust23THRUST_200600_302600_NS11hip_rocprim26transform_input_iterator_tIfNS8_17counting_iteratorIiNS8_11use_defaultESC_SC_EE11estimate_piEEPffNS8_4plusIfEEEE10hipError_tPvRmT1_T2_T3_mT4_P12ihipStream_tbEUlT_E0_NS1_11comp_targetILNS1_3genE8ELNS1_11target_archE1030ELNS1_3gpuE2ELNS1_3repE0EEENS1_30default_config_static_selectorELNS0_4arch9wavefront6targetE1EEEvSM_,@function
_ZN7rocprim17ROCPRIM_400000_NS6detail17trampoline_kernelINS0_14default_configENS1_22reduce_config_selectorIfEEZNS1_11reduce_implILb1ES3_N6thrust23THRUST_200600_302600_NS11hip_rocprim26transform_input_iterator_tIfNS8_17counting_iteratorIiNS8_11use_defaultESC_SC_EE11estimate_piEEPffNS8_4plusIfEEEE10hipError_tPvRmT1_T2_T3_mT4_P12ihipStream_tbEUlT_E0_NS1_11comp_targetILNS1_3genE8ELNS1_11target_archE1030ELNS1_3gpuE2ELNS1_3repE0EEENS1_30default_config_static_selectorELNS0_4arch9wavefront6targetE1EEEvSM_: ; @_ZN7rocprim17ROCPRIM_400000_NS6detail17trampoline_kernelINS0_14default_configENS1_22reduce_config_selectorIfEEZNS1_11reduce_implILb1ES3_N6thrust23THRUST_200600_302600_NS11hip_rocprim26transform_input_iterator_tIfNS8_17counting_iteratorIiNS8_11use_defaultESC_SC_EE11estimate_piEEPffNS8_4plusIfEEEE10hipError_tPvRmT1_T2_T3_mT4_P12ihipStream_tbEUlT_E0_NS1_11comp_targetILNS1_3genE8ELNS1_11target_archE1030ELNS1_3gpuE2ELNS1_3repE0EEENS1_30default_config_static_selectorELNS0_4arch9wavefront6targetE1EEEvSM_
; %bb.0:
	.section	.rodata,"a",@progbits
	.p2align	6, 0x0
	.amdhsa_kernel _ZN7rocprim17ROCPRIM_400000_NS6detail17trampoline_kernelINS0_14default_configENS1_22reduce_config_selectorIfEEZNS1_11reduce_implILb1ES3_N6thrust23THRUST_200600_302600_NS11hip_rocprim26transform_input_iterator_tIfNS8_17counting_iteratorIiNS8_11use_defaultESC_SC_EE11estimate_piEEPffNS8_4plusIfEEEE10hipError_tPvRmT1_T2_T3_mT4_P12ihipStream_tbEUlT_E0_NS1_11comp_targetILNS1_3genE8ELNS1_11target_archE1030ELNS1_3gpuE2ELNS1_3repE0EEENS1_30default_config_static_selectorELNS0_4arch9wavefront6targetE1EEEvSM_
		.amdhsa_group_segment_fixed_size 0
		.amdhsa_private_segment_fixed_size 0
		.amdhsa_kernarg_size 56
		.amdhsa_user_sgpr_count 6
		.amdhsa_user_sgpr_private_segment_buffer 1
		.amdhsa_user_sgpr_dispatch_ptr 0
		.amdhsa_user_sgpr_queue_ptr 0
		.amdhsa_user_sgpr_kernarg_segment_ptr 1
		.amdhsa_user_sgpr_dispatch_id 0
		.amdhsa_user_sgpr_flat_scratch_init 0
		.amdhsa_user_sgpr_private_segment_size 0
		.amdhsa_uses_dynamic_stack 0
		.amdhsa_system_sgpr_private_segment_wavefront_offset 0
		.amdhsa_system_sgpr_workgroup_id_x 1
		.amdhsa_system_sgpr_workgroup_id_y 0
		.amdhsa_system_sgpr_workgroup_id_z 0
		.amdhsa_system_sgpr_workgroup_info 0
		.amdhsa_system_vgpr_workitem_id 0
		.amdhsa_next_free_vgpr 1
		.amdhsa_next_free_sgpr 0
		.amdhsa_reserve_vcc 0
		.amdhsa_reserve_flat_scratch 0
		.amdhsa_float_round_mode_32 0
		.amdhsa_float_round_mode_16_64 0
		.amdhsa_float_denorm_mode_32 3
		.amdhsa_float_denorm_mode_16_64 3
		.amdhsa_dx10_clamp 1
		.amdhsa_ieee_mode 1
		.amdhsa_fp16_overflow 0
		.amdhsa_exception_fp_ieee_invalid_op 0
		.amdhsa_exception_fp_denorm_src 0
		.amdhsa_exception_fp_ieee_div_zero 0
		.amdhsa_exception_fp_ieee_overflow 0
		.amdhsa_exception_fp_ieee_underflow 0
		.amdhsa_exception_fp_ieee_inexact 0
		.amdhsa_exception_int_div_zero 0
	.end_amdhsa_kernel
	.section	.text._ZN7rocprim17ROCPRIM_400000_NS6detail17trampoline_kernelINS0_14default_configENS1_22reduce_config_selectorIfEEZNS1_11reduce_implILb1ES3_N6thrust23THRUST_200600_302600_NS11hip_rocprim26transform_input_iterator_tIfNS8_17counting_iteratorIiNS8_11use_defaultESC_SC_EE11estimate_piEEPffNS8_4plusIfEEEE10hipError_tPvRmT1_T2_T3_mT4_P12ihipStream_tbEUlT_E0_NS1_11comp_targetILNS1_3genE8ELNS1_11target_archE1030ELNS1_3gpuE2ELNS1_3repE0EEENS1_30default_config_static_selectorELNS0_4arch9wavefront6targetE1EEEvSM_,"axG",@progbits,_ZN7rocprim17ROCPRIM_400000_NS6detail17trampoline_kernelINS0_14default_configENS1_22reduce_config_selectorIfEEZNS1_11reduce_implILb1ES3_N6thrust23THRUST_200600_302600_NS11hip_rocprim26transform_input_iterator_tIfNS8_17counting_iteratorIiNS8_11use_defaultESC_SC_EE11estimate_piEEPffNS8_4plusIfEEEE10hipError_tPvRmT1_T2_T3_mT4_P12ihipStream_tbEUlT_E0_NS1_11comp_targetILNS1_3genE8ELNS1_11target_archE1030ELNS1_3gpuE2ELNS1_3repE0EEENS1_30default_config_static_selectorELNS0_4arch9wavefront6targetE1EEEvSM_,comdat
.Lfunc_end26:
	.size	_ZN7rocprim17ROCPRIM_400000_NS6detail17trampoline_kernelINS0_14default_configENS1_22reduce_config_selectorIfEEZNS1_11reduce_implILb1ES3_N6thrust23THRUST_200600_302600_NS11hip_rocprim26transform_input_iterator_tIfNS8_17counting_iteratorIiNS8_11use_defaultESC_SC_EE11estimate_piEEPffNS8_4plusIfEEEE10hipError_tPvRmT1_T2_T3_mT4_P12ihipStream_tbEUlT_E0_NS1_11comp_targetILNS1_3genE8ELNS1_11target_archE1030ELNS1_3gpuE2ELNS1_3repE0EEENS1_30default_config_static_selectorELNS0_4arch9wavefront6targetE1EEEvSM_, .Lfunc_end26-_ZN7rocprim17ROCPRIM_400000_NS6detail17trampoline_kernelINS0_14default_configENS1_22reduce_config_selectorIfEEZNS1_11reduce_implILb1ES3_N6thrust23THRUST_200600_302600_NS11hip_rocprim26transform_input_iterator_tIfNS8_17counting_iteratorIiNS8_11use_defaultESC_SC_EE11estimate_piEEPffNS8_4plusIfEEEE10hipError_tPvRmT1_T2_T3_mT4_P12ihipStream_tbEUlT_E0_NS1_11comp_targetILNS1_3genE8ELNS1_11target_archE1030ELNS1_3gpuE2ELNS1_3repE0EEENS1_30default_config_static_selectorELNS0_4arch9wavefront6targetE1EEEvSM_
                                        ; -- End function
	.set _ZN7rocprim17ROCPRIM_400000_NS6detail17trampoline_kernelINS0_14default_configENS1_22reduce_config_selectorIfEEZNS1_11reduce_implILb1ES3_N6thrust23THRUST_200600_302600_NS11hip_rocprim26transform_input_iterator_tIfNS8_17counting_iteratorIiNS8_11use_defaultESC_SC_EE11estimate_piEEPffNS8_4plusIfEEEE10hipError_tPvRmT1_T2_T3_mT4_P12ihipStream_tbEUlT_E0_NS1_11comp_targetILNS1_3genE8ELNS1_11target_archE1030ELNS1_3gpuE2ELNS1_3repE0EEENS1_30default_config_static_selectorELNS0_4arch9wavefront6targetE1EEEvSM_.num_vgpr, 0
	.set _ZN7rocprim17ROCPRIM_400000_NS6detail17trampoline_kernelINS0_14default_configENS1_22reduce_config_selectorIfEEZNS1_11reduce_implILb1ES3_N6thrust23THRUST_200600_302600_NS11hip_rocprim26transform_input_iterator_tIfNS8_17counting_iteratorIiNS8_11use_defaultESC_SC_EE11estimate_piEEPffNS8_4plusIfEEEE10hipError_tPvRmT1_T2_T3_mT4_P12ihipStream_tbEUlT_E0_NS1_11comp_targetILNS1_3genE8ELNS1_11target_archE1030ELNS1_3gpuE2ELNS1_3repE0EEENS1_30default_config_static_selectorELNS0_4arch9wavefront6targetE1EEEvSM_.num_agpr, 0
	.set _ZN7rocprim17ROCPRIM_400000_NS6detail17trampoline_kernelINS0_14default_configENS1_22reduce_config_selectorIfEEZNS1_11reduce_implILb1ES3_N6thrust23THRUST_200600_302600_NS11hip_rocprim26transform_input_iterator_tIfNS8_17counting_iteratorIiNS8_11use_defaultESC_SC_EE11estimate_piEEPffNS8_4plusIfEEEE10hipError_tPvRmT1_T2_T3_mT4_P12ihipStream_tbEUlT_E0_NS1_11comp_targetILNS1_3genE8ELNS1_11target_archE1030ELNS1_3gpuE2ELNS1_3repE0EEENS1_30default_config_static_selectorELNS0_4arch9wavefront6targetE1EEEvSM_.numbered_sgpr, 0
	.set _ZN7rocprim17ROCPRIM_400000_NS6detail17trampoline_kernelINS0_14default_configENS1_22reduce_config_selectorIfEEZNS1_11reduce_implILb1ES3_N6thrust23THRUST_200600_302600_NS11hip_rocprim26transform_input_iterator_tIfNS8_17counting_iteratorIiNS8_11use_defaultESC_SC_EE11estimate_piEEPffNS8_4plusIfEEEE10hipError_tPvRmT1_T2_T3_mT4_P12ihipStream_tbEUlT_E0_NS1_11comp_targetILNS1_3genE8ELNS1_11target_archE1030ELNS1_3gpuE2ELNS1_3repE0EEENS1_30default_config_static_selectorELNS0_4arch9wavefront6targetE1EEEvSM_.num_named_barrier, 0
	.set _ZN7rocprim17ROCPRIM_400000_NS6detail17trampoline_kernelINS0_14default_configENS1_22reduce_config_selectorIfEEZNS1_11reduce_implILb1ES3_N6thrust23THRUST_200600_302600_NS11hip_rocprim26transform_input_iterator_tIfNS8_17counting_iteratorIiNS8_11use_defaultESC_SC_EE11estimate_piEEPffNS8_4plusIfEEEE10hipError_tPvRmT1_T2_T3_mT4_P12ihipStream_tbEUlT_E0_NS1_11comp_targetILNS1_3genE8ELNS1_11target_archE1030ELNS1_3gpuE2ELNS1_3repE0EEENS1_30default_config_static_selectorELNS0_4arch9wavefront6targetE1EEEvSM_.private_seg_size, 0
	.set _ZN7rocprim17ROCPRIM_400000_NS6detail17trampoline_kernelINS0_14default_configENS1_22reduce_config_selectorIfEEZNS1_11reduce_implILb1ES3_N6thrust23THRUST_200600_302600_NS11hip_rocprim26transform_input_iterator_tIfNS8_17counting_iteratorIiNS8_11use_defaultESC_SC_EE11estimate_piEEPffNS8_4plusIfEEEE10hipError_tPvRmT1_T2_T3_mT4_P12ihipStream_tbEUlT_E0_NS1_11comp_targetILNS1_3genE8ELNS1_11target_archE1030ELNS1_3gpuE2ELNS1_3repE0EEENS1_30default_config_static_selectorELNS0_4arch9wavefront6targetE1EEEvSM_.uses_vcc, 0
	.set _ZN7rocprim17ROCPRIM_400000_NS6detail17trampoline_kernelINS0_14default_configENS1_22reduce_config_selectorIfEEZNS1_11reduce_implILb1ES3_N6thrust23THRUST_200600_302600_NS11hip_rocprim26transform_input_iterator_tIfNS8_17counting_iteratorIiNS8_11use_defaultESC_SC_EE11estimate_piEEPffNS8_4plusIfEEEE10hipError_tPvRmT1_T2_T3_mT4_P12ihipStream_tbEUlT_E0_NS1_11comp_targetILNS1_3genE8ELNS1_11target_archE1030ELNS1_3gpuE2ELNS1_3repE0EEENS1_30default_config_static_selectorELNS0_4arch9wavefront6targetE1EEEvSM_.uses_flat_scratch, 0
	.set _ZN7rocprim17ROCPRIM_400000_NS6detail17trampoline_kernelINS0_14default_configENS1_22reduce_config_selectorIfEEZNS1_11reduce_implILb1ES3_N6thrust23THRUST_200600_302600_NS11hip_rocprim26transform_input_iterator_tIfNS8_17counting_iteratorIiNS8_11use_defaultESC_SC_EE11estimate_piEEPffNS8_4plusIfEEEE10hipError_tPvRmT1_T2_T3_mT4_P12ihipStream_tbEUlT_E0_NS1_11comp_targetILNS1_3genE8ELNS1_11target_archE1030ELNS1_3gpuE2ELNS1_3repE0EEENS1_30default_config_static_selectorELNS0_4arch9wavefront6targetE1EEEvSM_.has_dyn_sized_stack, 0
	.set _ZN7rocprim17ROCPRIM_400000_NS6detail17trampoline_kernelINS0_14default_configENS1_22reduce_config_selectorIfEEZNS1_11reduce_implILb1ES3_N6thrust23THRUST_200600_302600_NS11hip_rocprim26transform_input_iterator_tIfNS8_17counting_iteratorIiNS8_11use_defaultESC_SC_EE11estimate_piEEPffNS8_4plusIfEEEE10hipError_tPvRmT1_T2_T3_mT4_P12ihipStream_tbEUlT_E0_NS1_11comp_targetILNS1_3genE8ELNS1_11target_archE1030ELNS1_3gpuE2ELNS1_3repE0EEENS1_30default_config_static_selectorELNS0_4arch9wavefront6targetE1EEEvSM_.has_recursion, 0
	.set _ZN7rocprim17ROCPRIM_400000_NS6detail17trampoline_kernelINS0_14default_configENS1_22reduce_config_selectorIfEEZNS1_11reduce_implILb1ES3_N6thrust23THRUST_200600_302600_NS11hip_rocprim26transform_input_iterator_tIfNS8_17counting_iteratorIiNS8_11use_defaultESC_SC_EE11estimate_piEEPffNS8_4plusIfEEEE10hipError_tPvRmT1_T2_T3_mT4_P12ihipStream_tbEUlT_E0_NS1_11comp_targetILNS1_3genE8ELNS1_11target_archE1030ELNS1_3gpuE2ELNS1_3repE0EEENS1_30default_config_static_selectorELNS0_4arch9wavefront6targetE1EEEvSM_.has_indirect_call, 0
	.section	.AMDGPU.csdata,"",@progbits
; Kernel info:
; codeLenInByte = 0
; TotalNumSgprs: 4
; NumVgprs: 0
; ScratchSize: 0
; MemoryBound: 0
; FloatMode: 240
; IeeeMode: 1
; LDSByteSize: 0 bytes/workgroup (compile time only)
; SGPRBlocks: 0
; VGPRBlocks: 0
; NumSGPRsForWavesPerEU: 4
; NumVGPRsForWavesPerEU: 1
; Occupancy: 10
; WaveLimiterHint : 0
; COMPUTE_PGM_RSRC2:SCRATCH_EN: 0
; COMPUTE_PGM_RSRC2:USER_SGPR: 6
; COMPUTE_PGM_RSRC2:TRAP_HANDLER: 0
; COMPUTE_PGM_RSRC2:TGID_X_EN: 1
; COMPUTE_PGM_RSRC2:TGID_Y_EN: 0
; COMPUTE_PGM_RSRC2:TGID_Z_EN: 0
; COMPUTE_PGM_RSRC2:TIDIG_COMP_CNT: 0
	.section	.text._ZN7rocprim17ROCPRIM_400000_NS6detail17trampoline_kernelINS0_14default_configENS1_22reduce_config_selectorIfEEZNS1_11reduce_implILb1ES3_N6thrust23THRUST_200600_302600_NS11hip_rocprim26transform_input_iterator_tIfNS8_17counting_iteratorIiNS8_11use_defaultESC_SC_EE11estimate_piEEPffNS8_4plusIfEEEE10hipError_tPvRmT1_T2_T3_mT4_P12ihipStream_tbEUlT_E1_NS1_11comp_targetILNS1_3genE0ELNS1_11target_archE4294967295ELNS1_3gpuE0ELNS1_3repE0EEENS1_30default_config_static_selectorELNS0_4arch9wavefront6targetE1EEEvSM_,"axG",@progbits,_ZN7rocprim17ROCPRIM_400000_NS6detail17trampoline_kernelINS0_14default_configENS1_22reduce_config_selectorIfEEZNS1_11reduce_implILb1ES3_N6thrust23THRUST_200600_302600_NS11hip_rocprim26transform_input_iterator_tIfNS8_17counting_iteratorIiNS8_11use_defaultESC_SC_EE11estimate_piEEPffNS8_4plusIfEEEE10hipError_tPvRmT1_T2_T3_mT4_P12ihipStream_tbEUlT_E1_NS1_11comp_targetILNS1_3genE0ELNS1_11target_archE4294967295ELNS1_3gpuE0ELNS1_3repE0EEENS1_30default_config_static_selectorELNS0_4arch9wavefront6targetE1EEEvSM_,comdat
	.protected	_ZN7rocprim17ROCPRIM_400000_NS6detail17trampoline_kernelINS0_14default_configENS1_22reduce_config_selectorIfEEZNS1_11reduce_implILb1ES3_N6thrust23THRUST_200600_302600_NS11hip_rocprim26transform_input_iterator_tIfNS8_17counting_iteratorIiNS8_11use_defaultESC_SC_EE11estimate_piEEPffNS8_4plusIfEEEE10hipError_tPvRmT1_T2_T3_mT4_P12ihipStream_tbEUlT_E1_NS1_11comp_targetILNS1_3genE0ELNS1_11target_archE4294967295ELNS1_3gpuE0ELNS1_3repE0EEENS1_30default_config_static_selectorELNS0_4arch9wavefront6targetE1EEEvSM_ ; -- Begin function _ZN7rocprim17ROCPRIM_400000_NS6detail17trampoline_kernelINS0_14default_configENS1_22reduce_config_selectorIfEEZNS1_11reduce_implILb1ES3_N6thrust23THRUST_200600_302600_NS11hip_rocprim26transform_input_iterator_tIfNS8_17counting_iteratorIiNS8_11use_defaultESC_SC_EE11estimate_piEEPffNS8_4plusIfEEEE10hipError_tPvRmT1_T2_T3_mT4_P12ihipStream_tbEUlT_E1_NS1_11comp_targetILNS1_3genE0ELNS1_11target_archE4294967295ELNS1_3gpuE0ELNS1_3repE0EEENS1_30default_config_static_selectorELNS0_4arch9wavefront6targetE1EEEvSM_
	.globl	_ZN7rocprim17ROCPRIM_400000_NS6detail17trampoline_kernelINS0_14default_configENS1_22reduce_config_selectorIfEEZNS1_11reduce_implILb1ES3_N6thrust23THRUST_200600_302600_NS11hip_rocprim26transform_input_iterator_tIfNS8_17counting_iteratorIiNS8_11use_defaultESC_SC_EE11estimate_piEEPffNS8_4plusIfEEEE10hipError_tPvRmT1_T2_T3_mT4_P12ihipStream_tbEUlT_E1_NS1_11comp_targetILNS1_3genE0ELNS1_11target_archE4294967295ELNS1_3gpuE0ELNS1_3repE0EEENS1_30default_config_static_selectorELNS0_4arch9wavefront6targetE1EEEvSM_
	.p2align	8
	.type	_ZN7rocprim17ROCPRIM_400000_NS6detail17trampoline_kernelINS0_14default_configENS1_22reduce_config_selectorIfEEZNS1_11reduce_implILb1ES3_N6thrust23THRUST_200600_302600_NS11hip_rocprim26transform_input_iterator_tIfNS8_17counting_iteratorIiNS8_11use_defaultESC_SC_EE11estimate_piEEPffNS8_4plusIfEEEE10hipError_tPvRmT1_T2_T3_mT4_P12ihipStream_tbEUlT_E1_NS1_11comp_targetILNS1_3genE0ELNS1_11target_archE4294967295ELNS1_3gpuE0ELNS1_3repE0EEENS1_30default_config_static_selectorELNS0_4arch9wavefront6targetE1EEEvSM_,@function
_ZN7rocprim17ROCPRIM_400000_NS6detail17trampoline_kernelINS0_14default_configENS1_22reduce_config_selectorIfEEZNS1_11reduce_implILb1ES3_N6thrust23THRUST_200600_302600_NS11hip_rocprim26transform_input_iterator_tIfNS8_17counting_iteratorIiNS8_11use_defaultESC_SC_EE11estimate_piEEPffNS8_4plusIfEEEE10hipError_tPvRmT1_T2_T3_mT4_P12ihipStream_tbEUlT_E1_NS1_11comp_targetILNS1_3genE0ELNS1_11target_archE4294967295ELNS1_3gpuE0ELNS1_3repE0EEENS1_30default_config_static_selectorELNS0_4arch9wavefront6targetE1EEEvSM_: ; @_ZN7rocprim17ROCPRIM_400000_NS6detail17trampoline_kernelINS0_14default_configENS1_22reduce_config_selectorIfEEZNS1_11reduce_implILb1ES3_N6thrust23THRUST_200600_302600_NS11hip_rocprim26transform_input_iterator_tIfNS8_17counting_iteratorIiNS8_11use_defaultESC_SC_EE11estimate_piEEPffNS8_4plusIfEEEE10hipError_tPvRmT1_T2_T3_mT4_P12ihipStream_tbEUlT_E1_NS1_11comp_targetILNS1_3genE0ELNS1_11target_archE4294967295ELNS1_3gpuE0ELNS1_3repE0EEENS1_30default_config_static_selectorELNS0_4arch9wavefront6targetE1EEEvSM_
; %bb.0:
	.section	.rodata,"a",@progbits
	.p2align	6, 0x0
	.amdhsa_kernel _ZN7rocprim17ROCPRIM_400000_NS6detail17trampoline_kernelINS0_14default_configENS1_22reduce_config_selectorIfEEZNS1_11reduce_implILb1ES3_N6thrust23THRUST_200600_302600_NS11hip_rocprim26transform_input_iterator_tIfNS8_17counting_iteratorIiNS8_11use_defaultESC_SC_EE11estimate_piEEPffNS8_4plusIfEEEE10hipError_tPvRmT1_T2_T3_mT4_P12ihipStream_tbEUlT_E1_NS1_11comp_targetILNS1_3genE0ELNS1_11target_archE4294967295ELNS1_3gpuE0ELNS1_3repE0EEENS1_30default_config_static_selectorELNS0_4arch9wavefront6targetE1EEEvSM_
		.amdhsa_group_segment_fixed_size 0
		.amdhsa_private_segment_fixed_size 0
		.amdhsa_kernarg_size 40
		.amdhsa_user_sgpr_count 6
		.amdhsa_user_sgpr_private_segment_buffer 1
		.amdhsa_user_sgpr_dispatch_ptr 0
		.amdhsa_user_sgpr_queue_ptr 0
		.amdhsa_user_sgpr_kernarg_segment_ptr 1
		.amdhsa_user_sgpr_dispatch_id 0
		.amdhsa_user_sgpr_flat_scratch_init 0
		.amdhsa_user_sgpr_private_segment_size 0
		.amdhsa_uses_dynamic_stack 0
		.amdhsa_system_sgpr_private_segment_wavefront_offset 0
		.amdhsa_system_sgpr_workgroup_id_x 1
		.amdhsa_system_sgpr_workgroup_id_y 0
		.amdhsa_system_sgpr_workgroup_id_z 0
		.amdhsa_system_sgpr_workgroup_info 0
		.amdhsa_system_vgpr_workitem_id 0
		.amdhsa_next_free_vgpr 1
		.amdhsa_next_free_sgpr 0
		.amdhsa_reserve_vcc 0
		.amdhsa_reserve_flat_scratch 0
		.amdhsa_float_round_mode_32 0
		.amdhsa_float_round_mode_16_64 0
		.amdhsa_float_denorm_mode_32 3
		.amdhsa_float_denorm_mode_16_64 3
		.amdhsa_dx10_clamp 1
		.amdhsa_ieee_mode 1
		.amdhsa_fp16_overflow 0
		.amdhsa_exception_fp_ieee_invalid_op 0
		.amdhsa_exception_fp_denorm_src 0
		.amdhsa_exception_fp_ieee_div_zero 0
		.amdhsa_exception_fp_ieee_overflow 0
		.amdhsa_exception_fp_ieee_underflow 0
		.amdhsa_exception_fp_ieee_inexact 0
		.amdhsa_exception_int_div_zero 0
	.end_amdhsa_kernel
	.section	.text._ZN7rocprim17ROCPRIM_400000_NS6detail17trampoline_kernelINS0_14default_configENS1_22reduce_config_selectorIfEEZNS1_11reduce_implILb1ES3_N6thrust23THRUST_200600_302600_NS11hip_rocprim26transform_input_iterator_tIfNS8_17counting_iteratorIiNS8_11use_defaultESC_SC_EE11estimate_piEEPffNS8_4plusIfEEEE10hipError_tPvRmT1_T2_T3_mT4_P12ihipStream_tbEUlT_E1_NS1_11comp_targetILNS1_3genE0ELNS1_11target_archE4294967295ELNS1_3gpuE0ELNS1_3repE0EEENS1_30default_config_static_selectorELNS0_4arch9wavefront6targetE1EEEvSM_,"axG",@progbits,_ZN7rocprim17ROCPRIM_400000_NS6detail17trampoline_kernelINS0_14default_configENS1_22reduce_config_selectorIfEEZNS1_11reduce_implILb1ES3_N6thrust23THRUST_200600_302600_NS11hip_rocprim26transform_input_iterator_tIfNS8_17counting_iteratorIiNS8_11use_defaultESC_SC_EE11estimate_piEEPffNS8_4plusIfEEEE10hipError_tPvRmT1_T2_T3_mT4_P12ihipStream_tbEUlT_E1_NS1_11comp_targetILNS1_3genE0ELNS1_11target_archE4294967295ELNS1_3gpuE0ELNS1_3repE0EEENS1_30default_config_static_selectorELNS0_4arch9wavefront6targetE1EEEvSM_,comdat
.Lfunc_end27:
	.size	_ZN7rocprim17ROCPRIM_400000_NS6detail17trampoline_kernelINS0_14default_configENS1_22reduce_config_selectorIfEEZNS1_11reduce_implILb1ES3_N6thrust23THRUST_200600_302600_NS11hip_rocprim26transform_input_iterator_tIfNS8_17counting_iteratorIiNS8_11use_defaultESC_SC_EE11estimate_piEEPffNS8_4plusIfEEEE10hipError_tPvRmT1_T2_T3_mT4_P12ihipStream_tbEUlT_E1_NS1_11comp_targetILNS1_3genE0ELNS1_11target_archE4294967295ELNS1_3gpuE0ELNS1_3repE0EEENS1_30default_config_static_selectorELNS0_4arch9wavefront6targetE1EEEvSM_, .Lfunc_end27-_ZN7rocprim17ROCPRIM_400000_NS6detail17trampoline_kernelINS0_14default_configENS1_22reduce_config_selectorIfEEZNS1_11reduce_implILb1ES3_N6thrust23THRUST_200600_302600_NS11hip_rocprim26transform_input_iterator_tIfNS8_17counting_iteratorIiNS8_11use_defaultESC_SC_EE11estimate_piEEPffNS8_4plusIfEEEE10hipError_tPvRmT1_T2_T3_mT4_P12ihipStream_tbEUlT_E1_NS1_11comp_targetILNS1_3genE0ELNS1_11target_archE4294967295ELNS1_3gpuE0ELNS1_3repE0EEENS1_30default_config_static_selectorELNS0_4arch9wavefront6targetE1EEEvSM_
                                        ; -- End function
	.set _ZN7rocprim17ROCPRIM_400000_NS6detail17trampoline_kernelINS0_14default_configENS1_22reduce_config_selectorIfEEZNS1_11reduce_implILb1ES3_N6thrust23THRUST_200600_302600_NS11hip_rocprim26transform_input_iterator_tIfNS8_17counting_iteratorIiNS8_11use_defaultESC_SC_EE11estimate_piEEPffNS8_4plusIfEEEE10hipError_tPvRmT1_T2_T3_mT4_P12ihipStream_tbEUlT_E1_NS1_11comp_targetILNS1_3genE0ELNS1_11target_archE4294967295ELNS1_3gpuE0ELNS1_3repE0EEENS1_30default_config_static_selectorELNS0_4arch9wavefront6targetE1EEEvSM_.num_vgpr, 0
	.set _ZN7rocprim17ROCPRIM_400000_NS6detail17trampoline_kernelINS0_14default_configENS1_22reduce_config_selectorIfEEZNS1_11reduce_implILb1ES3_N6thrust23THRUST_200600_302600_NS11hip_rocprim26transform_input_iterator_tIfNS8_17counting_iteratorIiNS8_11use_defaultESC_SC_EE11estimate_piEEPffNS8_4plusIfEEEE10hipError_tPvRmT1_T2_T3_mT4_P12ihipStream_tbEUlT_E1_NS1_11comp_targetILNS1_3genE0ELNS1_11target_archE4294967295ELNS1_3gpuE0ELNS1_3repE0EEENS1_30default_config_static_selectorELNS0_4arch9wavefront6targetE1EEEvSM_.num_agpr, 0
	.set _ZN7rocprim17ROCPRIM_400000_NS6detail17trampoline_kernelINS0_14default_configENS1_22reduce_config_selectorIfEEZNS1_11reduce_implILb1ES3_N6thrust23THRUST_200600_302600_NS11hip_rocprim26transform_input_iterator_tIfNS8_17counting_iteratorIiNS8_11use_defaultESC_SC_EE11estimate_piEEPffNS8_4plusIfEEEE10hipError_tPvRmT1_T2_T3_mT4_P12ihipStream_tbEUlT_E1_NS1_11comp_targetILNS1_3genE0ELNS1_11target_archE4294967295ELNS1_3gpuE0ELNS1_3repE0EEENS1_30default_config_static_selectorELNS0_4arch9wavefront6targetE1EEEvSM_.numbered_sgpr, 0
	.set _ZN7rocprim17ROCPRIM_400000_NS6detail17trampoline_kernelINS0_14default_configENS1_22reduce_config_selectorIfEEZNS1_11reduce_implILb1ES3_N6thrust23THRUST_200600_302600_NS11hip_rocprim26transform_input_iterator_tIfNS8_17counting_iteratorIiNS8_11use_defaultESC_SC_EE11estimate_piEEPffNS8_4plusIfEEEE10hipError_tPvRmT1_T2_T3_mT4_P12ihipStream_tbEUlT_E1_NS1_11comp_targetILNS1_3genE0ELNS1_11target_archE4294967295ELNS1_3gpuE0ELNS1_3repE0EEENS1_30default_config_static_selectorELNS0_4arch9wavefront6targetE1EEEvSM_.num_named_barrier, 0
	.set _ZN7rocprim17ROCPRIM_400000_NS6detail17trampoline_kernelINS0_14default_configENS1_22reduce_config_selectorIfEEZNS1_11reduce_implILb1ES3_N6thrust23THRUST_200600_302600_NS11hip_rocprim26transform_input_iterator_tIfNS8_17counting_iteratorIiNS8_11use_defaultESC_SC_EE11estimate_piEEPffNS8_4plusIfEEEE10hipError_tPvRmT1_T2_T3_mT4_P12ihipStream_tbEUlT_E1_NS1_11comp_targetILNS1_3genE0ELNS1_11target_archE4294967295ELNS1_3gpuE0ELNS1_3repE0EEENS1_30default_config_static_selectorELNS0_4arch9wavefront6targetE1EEEvSM_.private_seg_size, 0
	.set _ZN7rocprim17ROCPRIM_400000_NS6detail17trampoline_kernelINS0_14default_configENS1_22reduce_config_selectorIfEEZNS1_11reduce_implILb1ES3_N6thrust23THRUST_200600_302600_NS11hip_rocprim26transform_input_iterator_tIfNS8_17counting_iteratorIiNS8_11use_defaultESC_SC_EE11estimate_piEEPffNS8_4plusIfEEEE10hipError_tPvRmT1_T2_T3_mT4_P12ihipStream_tbEUlT_E1_NS1_11comp_targetILNS1_3genE0ELNS1_11target_archE4294967295ELNS1_3gpuE0ELNS1_3repE0EEENS1_30default_config_static_selectorELNS0_4arch9wavefront6targetE1EEEvSM_.uses_vcc, 0
	.set _ZN7rocprim17ROCPRIM_400000_NS6detail17trampoline_kernelINS0_14default_configENS1_22reduce_config_selectorIfEEZNS1_11reduce_implILb1ES3_N6thrust23THRUST_200600_302600_NS11hip_rocprim26transform_input_iterator_tIfNS8_17counting_iteratorIiNS8_11use_defaultESC_SC_EE11estimate_piEEPffNS8_4plusIfEEEE10hipError_tPvRmT1_T2_T3_mT4_P12ihipStream_tbEUlT_E1_NS1_11comp_targetILNS1_3genE0ELNS1_11target_archE4294967295ELNS1_3gpuE0ELNS1_3repE0EEENS1_30default_config_static_selectorELNS0_4arch9wavefront6targetE1EEEvSM_.uses_flat_scratch, 0
	.set _ZN7rocprim17ROCPRIM_400000_NS6detail17trampoline_kernelINS0_14default_configENS1_22reduce_config_selectorIfEEZNS1_11reduce_implILb1ES3_N6thrust23THRUST_200600_302600_NS11hip_rocprim26transform_input_iterator_tIfNS8_17counting_iteratorIiNS8_11use_defaultESC_SC_EE11estimate_piEEPffNS8_4plusIfEEEE10hipError_tPvRmT1_T2_T3_mT4_P12ihipStream_tbEUlT_E1_NS1_11comp_targetILNS1_3genE0ELNS1_11target_archE4294967295ELNS1_3gpuE0ELNS1_3repE0EEENS1_30default_config_static_selectorELNS0_4arch9wavefront6targetE1EEEvSM_.has_dyn_sized_stack, 0
	.set _ZN7rocprim17ROCPRIM_400000_NS6detail17trampoline_kernelINS0_14default_configENS1_22reduce_config_selectorIfEEZNS1_11reduce_implILb1ES3_N6thrust23THRUST_200600_302600_NS11hip_rocprim26transform_input_iterator_tIfNS8_17counting_iteratorIiNS8_11use_defaultESC_SC_EE11estimate_piEEPffNS8_4plusIfEEEE10hipError_tPvRmT1_T2_T3_mT4_P12ihipStream_tbEUlT_E1_NS1_11comp_targetILNS1_3genE0ELNS1_11target_archE4294967295ELNS1_3gpuE0ELNS1_3repE0EEENS1_30default_config_static_selectorELNS0_4arch9wavefront6targetE1EEEvSM_.has_recursion, 0
	.set _ZN7rocprim17ROCPRIM_400000_NS6detail17trampoline_kernelINS0_14default_configENS1_22reduce_config_selectorIfEEZNS1_11reduce_implILb1ES3_N6thrust23THRUST_200600_302600_NS11hip_rocprim26transform_input_iterator_tIfNS8_17counting_iteratorIiNS8_11use_defaultESC_SC_EE11estimate_piEEPffNS8_4plusIfEEEE10hipError_tPvRmT1_T2_T3_mT4_P12ihipStream_tbEUlT_E1_NS1_11comp_targetILNS1_3genE0ELNS1_11target_archE4294967295ELNS1_3gpuE0ELNS1_3repE0EEENS1_30default_config_static_selectorELNS0_4arch9wavefront6targetE1EEEvSM_.has_indirect_call, 0
	.section	.AMDGPU.csdata,"",@progbits
; Kernel info:
; codeLenInByte = 0
; TotalNumSgprs: 4
; NumVgprs: 0
; ScratchSize: 0
; MemoryBound: 0
; FloatMode: 240
; IeeeMode: 1
; LDSByteSize: 0 bytes/workgroup (compile time only)
; SGPRBlocks: 0
; VGPRBlocks: 0
; NumSGPRsForWavesPerEU: 4
; NumVGPRsForWavesPerEU: 1
; Occupancy: 10
; WaveLimiterHint : 0
; COMPUTE_PGM_RSRC2:SCRATCH_EN: 0
; COMPUTE_PGM_RSRC2:USER_SGPR: 6
; COMPUTE_PGM_RSRC2:TRAP_HANDLER: 0
; COMPUTE_PGM_RSRC2:TGID_X_EN: 1
; COMPUTE_PGM_RSRC2:TGID_Y_EN: 0
; COMPUTE_PGM_RSRC2:TGID_Z_EN: 0
; COMPUTE_PGM_RSRC2:TIDIG_COMP_CNT: 0
	.section	.text._ZN7rocprim17ROCPRIM_400000_NS6detail17trampoline_kernelINS0_14default_configENS1_22reduce_config_selectorIfEEZNS1_11reduce_implILb1ES3_N6thrust23THRUST_200600_302600_NS11hip_rocprim26transform_input_iterator_tIfNS8_17counting_iteratorIiNS8_11use_defaultESC_SC_EE11estimate_piEEPffNS8_4plusIfEEEE10hipError_tPvRmT1_T2_T3_mT4_P12ihipStream_tbEUlT_E1_NS1_11comp_targetILNS1_3genE5ELNS1_11target_archE942ELNS1_3gpuE9ELNS1_3repE0EEENS1_30default_config_static_selectorELNS0_4arch9wavefront6targetE1EEEvSM_,"axG",@progbits,_ZN7rocprim17ROCPRIM_400000_NS6detail17trampoline_kernelINS0_14default_configENS1_22reduce_config_selectorIfEEZNS1_11reduce_implILb1ES3_N6thrust23THRUST_200600_302600_NS11hip_rocprim26transform_input_iterator_tIfNS8_17counting_iteratorIiNS8_11use_defaultESC_SC_EE11estimate_piEEPffNS8_4plusIfEEEE10hipError_tPvRmT1_T2_T3_mT4_P12ihipStream_tbEUlT_E1_NS1_11comp_targetILNS1_3genE5ELNS1_11target_archE942ELNS1_3gpuE9ELNS1_3repE0EEENS1_30default_config_static_selectorELNS0_4arch9wavefront6targetE1EEEvSM_,comdat
	.protected	_ZN7rocprim17ROCPRIM_400000_NS6detail17trampoline_kernelINS0_14default_configENS1_22reduce_config_selectorIfEEZNS1_11reduce_implILb1ES3_N6thrust23THRUST_200600_302600_NS11hip_rocprim26transform_input_iterator_tIfNS8_17counting_iteratorIiNS8_11use_defaultESC_SC_EE11estimate_piEEPffNS8_4plusIfEEEE10hipError_tPvRmT1_T2_T3_mT4_P12ihipStream_tbEUlT_E1_NS1_11comp_targetILNS1_3genE5ELNS1_11target_archE942ELNS1_3gpuE9ELNS1_3repE0EEENS1_30default_config_static_selectorELNS0_4arch9wavefront6targetE1EEEvSM_ ; -- Begin function _ZN7rocprim17ROCPRIM_400000_NS6detail17trampoline_kernelINS0_14default_configENS1_22reduce_config_selectorIfEEZNS1_11reduce_implILb1ES3_N6thrust23THRUST_200600_302600_NS11hip_rocprim26transform_input_iterator_tIfNS8_17counting_iteratorIiNS8_11use_defaultESC_SC_EE11estimate_piEEPffNS8_4plusIfEEEE10hipError_tPvRmT1_T2_T3_mT4_P12ihipStream_tbEUlT_E1_NS1_11comp_targetILNS1_3genE5ELNS1_11target_archE942ELNS1_3gpuE9ELNS1_3repE0EEENS1_30default_config_static_selectorELNS0_4arch9wavefront6targetE1EEEvSM_
	.globl	_ZN7rocprim17ROCPRIM_400000_NS6detail17trampoline_kernelINS0_14default_configENS1_22reduce_config_selectorIfEEZNS1_11reduce_implILb1ES3_N6thrust23THRUST_200600_302600_NS11hip_rocprim26transform_input_iterator_tIfNS8_17counting_iteratorIiNS8_11use_defaultESC_SC_EE11estimate_piEEPffNS8_4plusIfEEEE10hipError_tPvRmT1_T2_T3_mT4_P12ihipStream_tbEUlT_E1_NS1_11comp_targetILNS1_3genE5ELNS1_11target_archE942ELNS1_3gpuE9ELNS1_3repE0EEENS1_30default_config_static_selectorELNS0_4arch9wavefront6targetE1EEEvSM_
	.p2align	8
	.type	_ZN7rocprim17ROCPRIM_400000_NS6detail17trampoline_kernelINS0_14default_configENS1_22reduce_config_selectorIfEEZNS1_11reduce_implILb1ES3_N6thrust23THRUST_200600_302600_NS11hip_rocprim26transform_input_iterator_tIfNS8_17counting_iteratorIiNS8_11use_defaultESC_SC_EE11estimate_piEEPffNS8_4plusIfEEEE10hipError_tPvRmT1_T2_T3_mT4_P12ihipStream_tbEUlT_E1_NS1_11comp_targetILNS1_3genE5ELNS1_11target_archE942ELNS1_3gpuE9ELNS1_3repE0EEENS1_30default_config_static_selectorELNS0_4arch9wavefront6targetE1EEEvSM_,@function
_ZN7rocprim17ROCPRIM_400000_NS6detail17trampoline_kernelINS0_14default_configENS1_22reduce_config_selectorIfEEZNS1_11reduce_implILb1ES3_N6thrust23THRUST_200600_302600_NS11hip_rocprim26transform_input_iterator_tIfNS8_17counting_iteratorIiNS8_11use_defaultESC_SC_EE11estimate_piEEPffNS8_4plusIfEEEE10hipError_tPvRmT1_T2_T3_mT4_P12ihipStream_tbEUlT_E1_NS1_11comp_targetILNS1_3genE5ELNS1_11target_archE942ELNS1_3gpuE9ELNS1_3repE0EEENS1_30default_config_static_selectorELNS0_4arch9wavefront6targetE1EEEvSM_: ; @_ZN7rocprim17ROCPRIM_400000_NS6detail17trampoline_kernelINS0_14default_configENS1_22reduce_config_selectorIfEEZNS1_11reduce_implILb1ES3_N6thrust23THRUST_200600_302600_NS11hip_rocprim26transform_input_iterator_tIfNS8_17counting_iteratorIiNS8_11use_defaultESC_SC_EE11estimate_piEEPffNS8_4plusIfEEEE10hipError_tPvRmT1_T2_T3_mT4_P12ihipStream_tbEUlT_E1_NS1_11comp_targetILNS1_3genE5ELNS1_11target_archE942ELNS1_3gpuE9ELNS1_3repE0EEENS1_30default_config_static_selectorELNS0_4arch9wavefront6targetE1EEEvSM_
; %bb.0:
	.section	.rodata,"a",@progbits
	.p2align	6, 0x0
	.amdhsa_kernel _ZN7rocprim17ROCPRIM_400000_NS6detail17trampoline_kernelINS0_14default_configENS1_22reduce_config_selectorIfEEZNS1_11reduce_implILb1ES3_N6thrust23THRUST_200600_302600_NS11hip_rocprim26transform_input_iterator_tIfNS8_17counting_iteratorIiNS8_11use_defaultESC_SC_EE11estimate_piEEPffNS8_4plusIfEEEE10hipError_tPvRmT1_T2_T3_mT4_P12ihipStream_tbEUlT_E1_NS1_11comp_targetILNS1_3genE5ELNS1_11target_archE942ELNS1_3gpuE9ELNS1_3repE0EEENS1_30default_config_static_selectorELNS0_4arch9wavefront6targetE1EEEvSM_
		.amdhsa_group_segment_fixed_size 0
		.amdhsa_private_segment_fixed_size 0
		.amdhsa_kernarg_size 40
		.amdhsa_user_sgpr_count 6
		.amdhsa_user_sgpr_private_segment_buffer 1
		.amdhsa_user_sgpr_dispatch_ptr 0
		.amdhsa_user_sgpr_queue_ptr 0
		.amdhsa_user_sgpr_kernarg_segment_ptr 1
		.amdhsa_user_sgpr_dispatch_id 0
		.amdhsa_user_sgpr_flat_scratch_init 0
		.amdhsa_user_sgpr_private_segment_size 0
		.amdhsa_uses_dynamic_stack 0
		.amdhsa_system_sgpr_private_segment_wavefront_offset 0
		.amdhsa_system_sgpr_workgroup_id_x 1
		.amdhsa_system_sgpr_workgroup_id_y 0
		.amdhsa_system_sgpr_workgroup_id_z 0
		.amdhsa_system_sgpr_workgroup_info 0
		.amdhsa_system_vgpr_workitem_id 0
		.amdhsa_next_free_vgpr 1
		.amdhsa_next_free_sgpr 0
		.amdhsa_reserve_vcc 0
		.amdhsa_reserve_flat_scratch 0
		.amdhsa_float_round_mode_32 0
		.amdhsa_float_round_mode_16_64 0
		.amdhsa_float_denorm_mode_32 3
		.amdhsa_float_denorm_mode_16_64 3
		.amdhsa_dx10_clamp 1
		.amdhsa_ieee_mode 1
		.amdhsa_fp16_overflow 0
		.amdhsa_exception_fp_ieee_invalid_op 0
		.amdhsa_exception_fp_denorm_src 0
		.amdhsa_exception_fp_ieee_div_zero 0
		.amdhsa_exception_fp_ieee_overflow 0
		.amdhsa_exception_fp_ieee_underflow 0
		.amdhsa_exception_fp_ieee_inexact 0
		.amdhsa_exception_int_div_zero 0
	.end_amdhsa_kernel
	.section	.text._ZN7rocprim17ROCPRIM_400000_NS6detail17trampoline_kernelINS0_14default_configENS1_22reduce_config_selectorIfEEZNS1_11reduce_implILb1ES3_N6thrust23THRUST_200600_302600_NS11hip_rocprim26transform_input_iterator_tIfNS8_17counting_iteratorIiNS8_11use_defaultESC_SC_EE11estimate_piEEPffNS8_4plusIfEEEE10hipError_tPvRmT1_T2_T3_mT4_P12ihipStream_tbEUlT_E1_NS1_11comp_targetILNS1_3genE5ELNS1_11target_archE942ELNS1_3gpuE9ELNS1_3repE0EEENS1_30default_config_static_selectorELNS0_4arch9wavefront6targetE1EEEvSM_,"axG",@progbits,_ZN7rocprim17ROCPRIM_400000_NS6detail17trampoline_kernelINS0_14default_configENS1_22reduce_config_selectorIfEEZNS1_11reduce_implILb1ES3_N6thrust23THRUST_200600_302600_NS11hip_rocprim26transform_input_iterator_tIfNS8_17counting_iteratorIiNS8_11use_defaultESC_SC_EE11estimate_piEEPffNS8_4plusIfEEEE10hipError_tPvRmT1_T2_T3_mT4_P12ihipStream_tbEUlT_E1_NS1_11comp_targetILNS1_3genE5ELNS1_11target_archE942ELNS1_3gpuE9ELNS1_3repE0EEENS1_30default_config_static_selectorELNS0_4arch9wavefront6targetE1EEEvSM_,comdat
.Lfunc_end28:
	.size	_ZN7rocprim17ROCPRIM_400000_NS6detail17trampoline_kernelINS0_14default_configENS1_22reduce_config_selectorIfEEZNS1_11reduce_implILb1ES3_N6thrust23THRUST_200600_302600_NS11hip_rocprim26transform_input_iterator_tIfNS8_17counting_iteratorIiNS8_11use_defaultESC_SC_EE11estimate_piEEPffNS8_4plusIfEEEE10hipError_tPvRmT1_T2_T3_mT4_P12ihipStream_tbEUlT_E1_NS1_11comp_targetILNS1_3genE5ELNS1_11target_archE942ELNS1_3gpuE9ELNS1_3repE0EEENS1_30default_config_static_selectorELNS0_4arch9wavefront6targetE1EEEvSM_, .Lfunc_end28-_ZN7rocprim17ROCPRIM_400000_NS6detail17trampoline_kernelINS0_14default_configENS1_22reduce_config_selectorIfEEZNS1_11reduce_implILb1ES3_N6thrust23THRUST_200600_302600_NS11hip_rocprim26transform_input_iterator_tIfNS8_17counting_iteratorIiNS8_11use_defaultESC_SC_EE11estimate_piEEPffNS8_4plusIfEEEE10hipError_tPvRmT1_T2_T3_mT4_P12ihipStream_tbEUlT_E1_NS1_11comp_targetILNS1_3genE5ELNS1_11target_archE942ELNS1_3gpuE9ELNS1_3repE0EEENS1_30default_config_static_selectorELNS0_4arch9wavefront6targetE1EEEvSM_
                                        ; -- End function
	.set _ZN7rocprim17ROCPRIM_400000_NS6detail17trampoline_kernelINS0_14default_configENS1_22reduce_config_selectorIfEEZNS1_11reduce_implILb1ES3_N6thrust23THRUST_200600_302600_NS11hip_rocprim26transform_input_iterator_tIfNS8_17counting_iteratorIiNS8_11use_defaultESC_SC_EE11estimate_piEEPffNS8_4plusIfEEEE10hipError_tPvRmT1_T2_T3_mT4_P12ihipStream_tbEUlT_E1_NS1_11comp_targetILNS1_3genE5ELNS1_11target_archE942ELNS1_3gpuE9ELNS1_3repE0EEENS1_30default_config_static_selectorELNS0_4arch9wavefront6targetE1EEEvSM_.num_vgpr, 0
	.set _ZN7rocprim17ROCPRIM_400000_NS6detail17trampoline_kernelINS0_14default_configENS1_22reduce_config_selectorIfEEZNS1_11reduce_implILb1ES3_N6thrust23THRUST_200600_302600_NS11hip_rocprim26transform_input_iterator_tIfNS8_17counting_iteratorIiNS8_11use_defaultESC_SC_EE11estimate_piEEPffNS8_4plusIfEEEE10hipError_tPvRmT1_T2_T3_mT4_P12ihipStream_tbEUlT_E1_NS1_11comp_targetILNS1_3genE5ELNS1_11target_archE942ELNS1_3gpuE9ELNS1_3repE0EEENS1_30default_config_static_selectorELNS0_4arch9wavefront6targetE1EEEvSM_.num_agpr, 0
	.set _ZN7rocprim17ROCPRIM_400000_NS6detail17trampoline_kernelINS0_14default_configENS1_22reduce_config_selectorIfEEZNS1_11reduce_implILb1ES3_N6thrust23THRUST_200600_302600_NS11hip_rocprim26transform_input_iterator_tIfNS8_17counting_iteratorIiNS8_11use_defaultESC_SC_EE11estimate_piEEPffNS8_4plusIfEEEE10hipError_tPvRmT1_T2_T3_mT4_P12ihipStream_tbEUlT_E1_NS1_11comp_targetILNS1_3genE5ELNS1_11target_archE942ELNS1_3gpuE9ELNS1_3repE0EEENS1_30default_config_static_selectorELNS0_4arch9wavefront6targetE1EEEvSM_.numbered_sgpr, 0
	.set _ZN7rocprim17ROCPRIM_400000_NS6detail17trampoline_kernelINS0_14default_configENS1_22reduce_config_selectorIfEEZNS1_11reduce_implILb1ES3_N6thrust23THRUST_200600_302600_NS11hip_rocprim26transform_input_iterator_tIfNS8_17counting_iteratorIiNS8_11use_defaultESC_SC_EE11estimate_piEEPffNS8_4plusIfEEEE10hipError_tPvRmT1_T2_T3_mT4_P12ihipStream_tbEUlT_E1_NS1_11comp_targetILNS1_3genE5ELNS1_11target_archE942ELNS1_3gpuE9ELNS1_3repE0EEENS1_30default_config_static_selectorELNS0_4arch9wavefront6targetE1EEEvSM_.num_named_barrier, 0
	.set _ZN7rocprim17ROCPRIM_400000_NS6detail17trampoline_kernelINS0_14default_configENS1_22reduce_config_selectorIfEEZNS1_11reduce_implILb1ES3_N6thrust23THRUST_200600_302600_NS11hip_rocprim26transform_input_iterator_tIfNS8_17counting_iteratorIiNS8_11use_defaultESC_SC_EE11estimate_piEEPffNS8_4plusIfEEEE10hipError_tPvRmT1_T2_T3_mT4_P12ihipStream_tbEUlT_E1_NS1_11comp_targetILNS1_3genE5ELNS1_11target_archE942ELNS1_3gpuE9ELNS1_3repE0EEENS1_30default_config_static_selectorELNS0_4arch9wavefront6targetE1EEEvSM_.private_seg_size, 0
	.set _ZN7rocprim17ROCPRIM_400000_NS6detail17trampoline_kernelINS0_14default_configENS1_22reduce_config_selectorIfEEZNS1_11reduce_implILb1ES3_N6thrust23THRUST_200600_302600_NS11hip_rocprim26transform_input_iterator_tIfNS8_17counting_iteratorIiNS8_11use_defaultESC_SC_EE11estimate_piEEPffNS8_4plusIfEEEE10hipError_tPvRmT1_T2_T3_mT4_P12ihipStream_tbEUlT_E1_NS1_11comp_targetILNS1_3genE5ELNS1_11target_archE942ELNS1_3gpuE9ELNS1_3repE0EEENS1_30default_config_static_selectorELNS0_4arch9wavefront6targetE1EEEvSM_.uses_vcc, 0
	.set _ZN7rocprim17ROCPRIM_400000_NS6detail17trampoline_kernelINS0_14default_configENS1_22reduce_config_selectorIfEEZNS1_11reduce_implILb1ES3_N6thrust23THRUST_200600_302600_NS11hip_rocprim26transform_input_iterator_tIfNS8_17counting_iteratorIiNS8_11use_defaultESC_SC_EE11estimate_piEEPffNS8_4plusIfEEEE10hipError_tPvRmT1_T2_T3_mT4_P12ihipStream_tbEUlT_E1_NS1_11comp_targetILNS1_3genE5ELNS1_11target_archE942ELNS1_3gpuE9ELNS1_3repE0EEENS1_30default_config_static_selectorELNS0_4arch9wavefront6targetE1EEEvSM_.uses_flat_scratch, 0
	.set _ZN7rocprim17ROCPRIM_400000_NS6detail17trampoline_kernelINS0_14default_configENS1_22reduce_config_selectorIfEEZNS1_11reduce_implILb1ES3_N6thrust23THRUST_200600_302600_NS11hip_rocprim26transform_input_iterator_tIfNS8_17counting_iteratorIiNS8_11use_defaultESC_SC_EE11estimate_piEEPffNS8_4plusIfEEEE10hipError_tPvRmT1_T2_T3_mT4_P12ihipStream_tbEUlT_E1_NS1_11comp_targetILNS1_3genE5ELNS1_11target_archE942ELNS1_3gpuE9ELNS1_3repE0EEENS1_30default_config_static_selectorELNS0_4arch9wavefront6targetE1EEEvSM_.has_dyn_sized_stack, 0
	.set _ZN7rocprim17ROCPRIM_400000_NS6detail17trampoline_kernelINS0_14default_configENS1_22reduce_config_selectorIfEEZNS1_11reduce_implILb1ES3_N6thrust23THRUST_200600_302600_NS11hip_rocprim26transform_input_iterator_tIfNS8_17counting_iteratorIiNS8_11use_defaultESC_SC_EE11estimate_piEEPffNS8_4plusIfEEEE10hipError_tPvRmT1_T2_T3_mT4_P12ihipStream_tbEUlT_E1_NS1_11comp_targetILNS1_3genE5ELNS1_11target_archE942ELNS1_3gpuE9ELNS1_3repE0EEENS1_30default_config_static_selectorELNS0_4arch9wavefront6targetE1EEEvSM_.has_recursion, 0
	.set _ZN7rocprim17ROCPRIM_400000_NS6detail17trampoline_kernelINS0_14default_configENS1_22reduce_config_selectorIfEEZNS1_11reduce_implILb1ES3_N6thrust23THRUST_200600_302600_NS11hip_rocprim26transform_input_iterator_tIfNS8_17counting_iteratorIiNS8_11use_defaultESC_SC_EE11estimate_piEEPffNS8_4plusIfEEEE10hipError_tPvRmT1_T2_T3_mT4_P12ihipStream_tbEUlT_E1_NS1_11comp_targetILNS1_3genE5ELNS1_11target_archE942ELNS1_3gpuE9ELNS1_3repE0EEENS1_30default_config_static_selectorELNS0_4arch9wavefront6targetE1EEEvSM_.has_indirect_call, 0
	.section	.AMDGPU.csdata,"",@progbits
; Kernel info:
; codeLenInByte = 0
; TotalNumSgprs: 4
; NumVgprs: 0
; ScratchSize: 0
; MemoryBound: 0
; FloatMode: 240
; IeeeMode: 1
; LDSByteSize: 0 bytes/workgroup (compile time only)
; SGPRBlocks: 0
; VGPRBlocks: 0
; NumSGPRsForWavesPerEU: 4
; NumVGPRsForWavesPerEU: 1
; Occupancy: 10
; WaveLimiterHint : 0
; COMPUTE_PGM_RSRC2:SCRATCH_EN: 0
; COMPUTE_PGM_RSRC2:USER_SGPR: 6
; COMPUTE_PGM_RSRC2:TRAP_HANDLER: 0
; COMPUTE_PGM_RSRC2:TGID_X_EN: 1
; COMPUTE_PGM_RSRC2:TGID_Y_EN: 0
; COMPUTE_PGM_RSRC2:TGID_Z_EN: 0
; COMPUTE_PGM_RSRC2:TIDIG_COMP_CNT: 0
	.section	.text._ZN7rocprim17ROCPRIM_400000_NS6detail17trampoline_kernelINS0_14default_configENS1_22reduce_config_selectorIfEEZNS1_11reduce_implILb1ES3_N6thrust23THRUST_200600_302600_NS11hip_rocprim26transform_input_iterator_tIfNS8_17counting_iteratorIiNS8_11use_defaultESC_SC_EE11estimate_piEEPffNS8_4plusIfEEEE10hipError_tPvRmT1_T2_T3_mT4_P12ihipStream_tbEUlT_E1_NS1_11comp_targetILNS1_3genE4ELNS1_11target_archE910ELNS1_3gpuE8ELNS1_3repE0EEENS1_30default_config_static_selectorELNS0_4arch9wavefront6targetE1EEEvSM_,"axG",@progbits,_ZN7rocprim17ROCPRIM_400000_NS6detail17trampoline_kernelINS0_14default_configENS1_22reduce_config_selectorIfEEZNS1_11reduce_implILb1ES3_N6thrust23THRUST_200600_302600_NS11hip_rocprim26transform_input_iterator_tIfNS8_17counting_iteratorIiNS8_11use_defaultESC_SC_EE11estimate_piEEPffNS8_4plusIfEEEE10hipError_tPvRmT1_T2_T3_mT4_P12ihipStream_tbEUlT_E1_NS1_11comp_targetILNS1_3genE4ELNS1_11target_archE910ELNS1_3gpuE8ELNS1_3repE0EEENS1_30default_config_static_selectorELNS0_4arch9wavefront6targetE1EEEvSM_,comdat
	.protected	_ZN7rocprim17ROCPRIM_400000_NS6detail17trampoline_kernelINS0_14default_configENS1_22reduce_config_selectorIfEEZNS1_11reduce_implILb1ES3_N6thrust23THRUST_200600_302600_NS11hip_rocprim26transform_input_iterator_tIfNS8_17counting_iteratorIiNS8_11use_defaultESC_SC_EE11estimate_piEEPffNS8_4plusIfEEEE10hipError_tPvRmT1_T2_T3_mT4_P12ihipStream_tbEUlT_E1_NS1_11comp_targetILNS1_3genE4ELNS1_11target_archE910ELNS1_3gpuE8ELNS1_3repE0EEENS1_30default_config_static_selectorELNS0_4arch9wavefront6targetE1EEEvSM_ ; -- Begin function _ZN7rocprim17ROCPRIM_400000_NS6detail17trampoline_kernelINS0_14default_configENS1_22reduce_config_selectorIfEEZNS1_11reduce_implILb1ES3_N6thrust23THRUST_200600_302600_NS11hip_rocprim26transform_input_iterator_tIfNS8_17counting_iteratorIiNS8_11use_defaultESC_SC_EE11estimate_piEEPffNS8_4plusIfEEEE10hipError_tPvRmT1_T2_T3_mT4_P12ihipStream_tbEUlT_E1_NS1_11comp_targetILNS1_3genE4ELNS1_11target_archE910ELNS1_3gpuE8ELNS1_3repE0EEENS1_30default_config_static_selectorELNS0_4arch9wavefront6targetE1EEEvSM_
	.globl	_ZN7rocprim17ROCPRIM_400000_NS6detail17trampoline_kernelINS0_14default_configENS1_22reduce_config_selectorIfEEZNS1_11reduce_implILb1ES3_N6thrust23THRUST_200600_302600_NS11hip_rocprim26transform_input_iterator_tIfNS8_17counting_iteratorIiNS8_11use_defaultESC_SC_EE11estimate_piEEPffNS8_4plusIfEEEE10hipError_tPvRmT1_T2_T3_mT4_P12ihipStream_tbEUlT_E1_NS1_11comp_targetILNS1_3genE4ELNS1_11target_archE910ELNS1_3gpuE8ELNS1_3repE0EEENS1_30default_config_static_selectorELNS0_4arch9wavefront6targetE1EEEvSM_
	.p2align	8
	.type	_ZN7rocprim17ROCPRIM_400000_NS6detail17trampoline_kernelINS0_14default_configENS1_22reduce_config_selectorIfEEZNS1_11reduce_implILb1ES3_N6thrust23THRUST_200600_302600_NS11hip_rocprim26transform_input_iterator_tIfNS8_17counting_iteratorIiNS8_11use_defaultESC_SC_EE11estimate_piEEPffNS8_4plusIfEEEE10hipError_tPvRmT1_T2_T3_mT4_P12ihipStream_tbEUlT_E1_NS1_11comp_targetILNS1_3genE4ELNS1_11target_archE910ELNS1_3gpuE8ELNS1_3repE0EEENS1_30default_config_static_selectorELNS0_4arch9wavefront6targetE1EEEvSM_,@function
_ZN7rocprim17ROCPRIM_400000_NS6detail17trampoline_kernelINS0_14default_configENS1_22reduce_config_selectorIfEEZNS1_11reduce_implILb1ES3_N6thrust23THRUST_200600_302600_NS11hip_rocprim26transform_input_iterator_tIfNS8_17counting_iteratorIiNS8_11use_defaultESC_SC_EE11estimate_piEEPffNS8_4plusIfEEEE10hipError_tPvRmT1_T2_T3_mT4_P12ihipStream_tbEUlT_E1_NS1_11comp_targetILNS1_3genE4ELNS1_11target_archE910ELNS1_3gpuE8ELNS1_3repE0EEENS1_30default_config_static_selectorELNS0_4arch9wavefront6targetE1EEEvSM_: ; @_ZN7rocprim17ROCPRIM_400000_NS6detail17trampoline_kernelINS0_14default_configENS1_22reduce_config_selectorIfEEZNS1_11reduce_implILb1ES3_N6thrust23THRUST_200600_302600_NS11hip_rocprim26transform_input_iterator_tIfNS8_17counting_iteratorIiNS8_11use_defaultESC_SC_EE11estimate_piEEPffNS8_4plusIfEEEE10hipError_tPvRmT1_T2_T3_mT4_P12ihipStream_tbEUlT_E1_NS1_11comp_targetILNS1_3genE4ELNS1_11target_archE910ELNS1_3gpuE8ELNS1_3repE0EEENS1_30default_config_static_selectorELNS0_4arch9wavefront6targetE1EEEvSM_
; %bb.0:
	.section	.rodata,"a",@progbits
	.p2align	6, 0x0
	.amdhsa_kernel _ZN7rocprim17ROCPRIM_400000_NS6detail17trampoline_kernelINS0_14default_configENS1_22reduce_config_selectorIfEEZNS1_11reduce_implILb1ES3_N6thrust23THRUST_200600_302600_NS11hip_rocprim26transform_input_iterator_tIfNS8_17counting_iteratorIiNS8_11use_defaultESC_SC_EE11estimate_piEEPffNS8_4plusIfEEEE10hipError_tPvRmT1_T2_T3_mT4_P12ihipStream_tbEUlT_E1_NS1_11comp_targetILNS1_3genE4ELNS1_11target_archE910ELNS1_3gpuE8ELNS1_3repE0EEENS1_30default_config_static_selectorELNS0_4arch9wavefront6targetE1EEEvSM_
		.amdhsa_group_segment_fixed_size 0
		.amdhsa_private_segment_fixed_size 0
		.amdhsa_kernarg_size 40
		.amdhsa_user_sgpr_count 6
		.amdhsa_user_sgpr_private_segment_buffer 1
		.amdhsa_user_sgpr_dispatch_ptr 0
		.amdhsa_user_sgpr_queue_ptr 0
		.amdhsa_user_sgpr_kernarg_segment_ptr 1
		.amdhsa_user_sgpr_dispatch_id 0
		.amdhsa_user_sgpr_flat_scratch_init 0
		.amdhsa_user_sgpr_private_segment_size 0
		.amdhsa_uses_dynamic_stack 0
		.amdhsa_system_sgpr_private_segment_wavefront_offset 0
		.amdhsa_system_sgpr_workgroup_id_x 1
		.amdhsa_system_sgpr_workgroup_id_y 0
		.amdhsa_system_sgpr_workgroup_id_z 0
		.amdhsa_system_sgpr_workgroup_info 0
		.amdhsa_system_vgpr_workitem_id 0
		.amdhsa_next_free_vgpr 1
		.amdhsa_next_free_sgpr 0
		.amdhsa_reserve_vcc 0
		.amdhsa_reserve_flat_scratch 0
		.amdhsa_float_round_mode_32 0
		.amdhsa_float_round_mode_16_64 0
		.amdhsa_float_denorm_mode_32 3
		.amdhsa_float_denorm_mode_16_64 3
		.amdhsa_dx10_clamp 1
		.amdhsa_ieee_mode 1
		.amdhsa_fp16_overflow 0
		.amdhsa_exception_fp_ieee_invalid_op 0
		.amdhsa_exception_fp_denorm_src 0
		.amdhsa_exception_fp_ieee_div_zero 0
		.amdhsa_exception_fp_ieee_overflow 0
		.amdhsa_exception_fp_ieee_underflow 0
		.amdhsa_exception_fp_ieee_inexact 0
		.amdhsa_exception_int_div_zero 0
	.end_amdhsa_kernel
	.section	.text._ZN7rocprim17ROCPRIM_400000_NS6detail17trampoline_kernelINS0_14default_configENS1_22reduce_config_selectorIfEEZNS1_11reduce_implILb1ES3_N6thrust23THRUST_200600_302600_NS11hip_rocprim26transform_input_iterator_tIfNS8_17counting_iteratorIiNS8_11use_defaultESC_SC_EE11estimate_piEEPffNS8_4plusIfEEEE10hipError_tPvRmT1_T2_T3_mT4_P12ihipStream_tbEUlT_E1_NS1_11comp_targetILNS1_3genE4ELNS1_11target_archE910ELNS1_3gpuE8ELNS1_3repE0EEENS1_30default_config_static_selectorELNS0_4arch9wavefront6targetE1EEEvSM_,"axG",@progbits,_ZN7rocprim17ROCPRIM_400000_NS6detail17trampoline_kernelINS0_14default_configENS1_22reduce_config_selectorIfEEZNS1_11reduce_implILb1ES3_N6thrust23THRUST_200600_302600_NS11hip_rocprim26transform_input_iterator_tIfNS8_17counting_iteratorIiNS8_11use_defaultESC_SC_EE11estimate_piEEPffNS8_4plusIfEEEE10hipError_tPvRmT1_T2_T3_mT4_P12ihipStream_tbEUlT_E1_NS1_11comp_targetILNS1_3genE4ELNS1_11target_archE910ELNS1_3gpuE8ELNS1_3repE0EEENS1_30default_config_static_selectorELNS0_4arch9wavefront6targetE1EEEvSM_,comdat
.Lfunc_end29:
	.size	_ZN7rocprim17ROCPRIM_400000_NS6detail17trampoline_kernelINS0_14default_configENS1_22reduce_config_selectorIfEEZNS1_11reduce_implILb1ES3_N6thrust23THRUST_200600_302600_NS11hip_rocprim26transform_input_iterator_tIfNS8_17counting_iteratorIiNS8_11use_defaultESC_SC_EE11estimate_piEEPffNS8_4plusIfEEEE10hipError_tPvRmT1_T2_T3_mT4_P12ihipStream_tbEUlT_E1_NS1_11comp_targetILNS1_3genE4ELNS1_11target_archE910ELNS1_3gpuE8ELNS1_3repE0EEENS1_30default_config_static_selectorELNS0_4arch9wavefront6targetE1EEEvSM_, .Lfunc_end29-_ZN7rocprim17ROCPRIM_400000_NS6detail17trampoline_kernelINS0_14default_configENS1_22reduce_config_selectorIfEEZNS1_11reduce_implILb1ES3_N6thrust23THRUST_200600_302600_NS11hip_rocprim26transform_input_iterator_tIfNS8_17counting_iteratorIiNS8_11use_defaultESC_SC_EE11estimate_piEEPffNS8_4plusIfEEEE10hipError_tPvRmT1_T2_T3_mT4_P12ihipStream_tbEUlT_E1_NS1_11comp_targetILNS1_3genE4ELNS1_11target_archE910ELNS1_3gpuE8ELNS1_3repE0EEENS1_30default_config_static_selectorELNS0_4arch9wavefront6targetE1EEEvSM_
                                        ; -- End function
	.set _ZN7rocprim17ROCPRIM_400000_NS6detail17trampoline_kernelINS0_14default_configENS1_22reduce_config_selectorIfEEZNS1_11reduce_implILb1ES3_N6thrust23THRUST_200600_302600_NS11hip_rocprim26transform_input_iterator_tIfNS8_17counting_iteratorIiNS8_11use_defaultESC_SC_EE11estimate_piEEPffNS8_4plusIfEEEE10hipError_tPvRmT1_T2_T3_mT4_P12ihipStream_tbEUlT_E1_NS1_11comp_targetILNS1_3genE4ELNS1_11target_archE910ELNS1_3gpuE8ELNS1_3repE0EEENS1_30default_config_static_selectorELNS0_4arch9wavefront6targetE1EEEvSM_.num_vgpr, 0
	.set _ZN7rocprim17ROCPRIM_400000_NS6detail17trampoline_kernelINS0_14default_configENS1_22reduce_config_selectorIfEEZNS1_11reduce_implILb1ES3_N6thrust23THRUST_200600_302600_NS11hip_rocprim26transform_input_iterator_tIfNS8_17counting_iteratorIiNS8_11use_defaultESC_SC_EE11estimate_piEEPffNS8_4plusIfEEEE10hipError_tPvRmT1_T2_T3_mT4_P12ihipStream_tbEUlT_E1_NS1_11comp_targetILNS1_3genE4ELNS1_11target_archE910ELNS1_3gpuE8ELNS1_3repE0EEENS1_30default_config_static_selectorELNS0_4arch9wavefront6targetE1EEEvSM_.num_agpr, 0
	.set _ZN7rocprim17ROCPRIM_400000_NS6detail17trampoline_kernelINS0_14default_configENS1_22reduce_config_selectorIfEEZNS1_11reduce_implILb1ES3_N6thrust23THRUST_200600_302600_NS11hip_rocprim26transform_input_iterator_tIfNS8_17counting_iteratorIiNS8_11use_defaultESC_SC_EE11estimate_piEEPffNS8_4plusIfEEEE10hipError_tPvRmT1_T2_T3_mT4_P12ihipStream_tbEUlT_E1_NS1_11comp_targetILNS1_3genE4ELNS1_11target_archE910ELNS1_3gpuE8ELNS1_3repE0EEENS1_30default_config_static_selectorELNS0_4arch9wavefront6targetE1EEEvSM_.numbered_sgpr, 0
	.set _ZN7rocprim17ROCPRIM_400000_NS6detail17trampoline_kernelINS0_14default_configENS1_22reduce_config_selectorIfEEZNS1_11reduce_implILb1ES3_N6thrust23THRUST_200600_302600_NS11hip_rocprim26transform_input_iterator_tIfNS8_17counting_iteratorIiNS8_11use_defaultESC_SC_EE11estimate_piEEPffNS8_4plusIfEEEE10hipError_tPvRmT1_T2_T3_mT4_P12ihipStream_tbEUlT_E1_NS1_11comp_targetILNS1_3genE4ELNS1_11target_archE910ELNS1_3gpuE8ELNS1_3repE0EEENS1_30default_config_static_selectorELNS0_4arch9wavefront6targetE1EEEvSM_.num_named_barrier, 0
	.set _ZN7rocprim17ROCPRIM_400000_NS6detail17trampoline_kernelINS0_14default_configENS1_22reduce_config_selectorIfEEZNS1_11reduce_implILb1ES3_N6thrust23THRUST_200600_302600_NS11hip_rocprim26transform_input_iterator_tIfNS8_17counting_iteratorIiNS8_11use_defaultESC_SC_EE11estimate_piEEPffNS8_4plusIfEEEE10hipError_tPvRmT1_T2_T3_mT4_P12ihipStream_tbEUlT_E1_NS1_11comp_targetILNS1_3genE4ELNS1_11target_archE910ELNS1_3gpuE8ELNS1_3repE0EEENS1_30default_config_static_selectorELNS0_4arch9wavefront6targetE1EEEvSM_.private_seg_size, 0
	.set _ZN7rocprim17ROCPRIM_400000_NS6detail17trampoline_kernelINS0_14default_configENS1_22reduce_config_selectorIfEEZNS1_11reduce_implILb1ES3_N6thrust23THRUST_200600_302600_NS11hip_rocprim26transform_input_iterator_tIfNS8_17counting_iteratorIiNS8_11use_defaultESC_SC_EE11estimate_piEEPffNS8_4plusIfEEEE10hipError_tPvRmT1_T2_T3_mT4_P12ihipStream_tbEUlT_E1_NS1_11comp_targetILNS1_3genE4ELNS1_11target_archE910ELNS1_3gpuE8ELNS1_3repE0EEENS1_30default_config_static_selectorELNS0_4arch9wavefront6targetE1EEEvSM_.uses_vcc, 0
	.set _ZN7rocprim17ROCPRIM_400000_NS6detail17trampoline_kernelINS0_14default_configENS1_22reduce_config_selectorIfEEZNS1_11reduce_implILb1ES3_N6thrust23THRUST_200600_302600_NS11hip_rocprim26transform_input_iterator_tIfNS8_17counting_iteratorIiNS8_11use_defaultESC_SC_EE11estimate_piEEPffNS8_4plusIfEEEE10hipError_tPvRmT1_T2_T3_mT4_P12ihipStream_tbEUlT_E1_NS1_11comp_targetILNS1_3genE4ELNS1_11target_archE910ELNS1_3gpuE8ELNS1_3repE0EEENS1_30default_config_static_selectorELNS0_4arch9wavefront6targetE1EEEvSM_.uses_flat_scratch, 0
	.set _ZN7rocprim17ROCPRIM_400000_NS6detail17trampoline_kernelINS0_14default_configENS1_22reduce_config_selectorIfEEZNS1_11reduce_implILb1ES3_N6thrust23THRUST_200600_302600_NS11hip_rocprim26transform_input_iterator_tIfNS8_17counting_iteratorIiNS8_11use_defaultESC_SC_EE11estimate_piEEPffNS8_4plusIfEEEE10hipError_tPvRmT1_T2_T3_mT4_P12ihipStream_tbEUlT_E1_NS1_11comp_targetILNS1_3genE4ELNS1_11target_archE910ELNS1_3gpuE8ELNS1_3repE0EEENS1_30default_config_static_selectorELNS0_4arch9wavefront6targetE1EEEvSM_.has_dyn_sized_stack, 0
	.set _ZN7rocprim17ROCPRIM_400000_NS6detail17trampoline_kernelINS0_14default_configENS1_22reduce_config_selectorIfEEZNS1_11reduce_implILb1ES3_N6thrust23THRUST_200600_302600_NS11hip_rocprim26transform_input_iterator_tIfNS8_17counting_iteratorIiNS8_11use_defaultESC_SC_EE11estimate_piEEPffNS8_4plusIfEEEE10hipError_tPvRmT1_T2_T3_mT4_P12ihipStream_tbEUlT_E1_NS1_11comp_targetILNS1_3genE4ELNS1_11target_archE910ELNS1_3gpuE8ELNS1_3repE0EEENS1_30default_config_static_selectorELNS0_4arch9wavefront6targetE1EEEvSM_.has_recursion, 0
	.set _ZN7rocprim17ROCPRIM_400000_NS6detail17trampoline_kernelINS0_14default_configENS1_22reduce_config_selectorIfEEZNS1_11reduce_implILb1ES3_N6thrust23THRUST_200600_302600_NS11hip_rocprim26transform_input_iterator_tIfNS8_17counting_iteratorIiNS8_11use_defaultESC_SC_EE11estimate_piEEPffNS8_4plusIfEEEE10hipError_tPvRmT1_T2_T3_mT4_P12ihipStream_tbEUlT_E1_NS1_11comp_targetILNS1_3genE4ELNS1_11target_archE910ELNS1_3gpuE8ELNS1_3repE0EEENS1_30default_config_static_selectorELNS0_4arch9wavefront6targetE1EEEvSM_.has_indirect_call, 0
	.section	.AMDGPU.csdata,"",@progbits
; Kernel info:
; codeLenInByte = 0
; TotalNumSgprs: 4
; NumVgprs: 0
; ScratchSize: 0
; MemoryBound: 0
; FloatMode: 240
; IeeeMode: 1
; LDSByteSize: 0 bytes/workgroup (compile time only)
; SGPRBlocks: 0
; VGPRBlocks: 0
; NumSGPRsForWavesPerEU: 4
; NumVGPRsForWavesPerEU: 1
; Occupancy: 10
; WaveLimiterHint : 0
; COMPUTE_PGM_RSRC2:SCRATCH_EN: 0
; COMPUTE_PGM_RSRC2:USER_SGPR: 6
; COMPUTE_PGM_RSRC2:TRAP_HANDLER: 0
; COMPUTE_PGM_RSRC2:TGID_X_EN: 1
; COMPUTE_PGM_RSRC2:TGID_Y_EN: 0
; COMPUTE_PGM_RSRC2:TGID_Z_EN: 0
; COMPUTE_PGM_RSRC2:TIDIG_COMP_CNT: 0
	.section	.text._ZN7rocprim17ROCPRIM_400000_NS6detail17trampoline_kernelINS0_14default_configENS1_22reduce_config_selectorIfEEZNS1_11reduce_implILb1ES3_N6thrust23THRUST_200600_302600_NS11hip_rocprim26transform_input_iterator_tIfNS8_17counting_iteratorIiNS8_11use_defaultESC_SC_EE11estimate_piEEPffNS8_4plusIfEEEE10hipError_tPvRmT1_T2_T3_mT4_P12ihipStream_tbEUlT_E1_NS1_11comp_targetILNS1_3genE3ELNS1_11target_archE908ELNS1_3gpuE7ELNS1_3repE0EEENS1_30default_config_static_selectorELNS0_4arch9wavefront6targetE1EEEvSM_,"axG",@progbits,_ZN7rocprim17ROCPRIM_400000_NS6detail17trampoline_kernelINS0_14default_configENS1_22reduce_config_selectorIfEEZNS1_11reduce_implILb1ES3_N6thrust23THRUST_200600_302600_NS11hip_rocprim26transform_input_iterator_tIfNS8_17counting_iteratorIiNS8_11use_defaultESC_SC_EE11estimate_piEEPffNS8_4plusIfEEEE10hipError_tPvRmT1_T2_T3_mT4_P12ihipStream_tbEUlT_E1_NS1_11comp_targetILNS1_3genE3ELNS1_11target_archE908ELNS1_3gpuE7ELNS1_3repE0EEENS1_30default_config_static_selectorELNS0_4arch9wavefront6targetE1EEEvSM_,comdat
	.protected	_ZN7rocprim17ROCPRIM_400000_NS6detail17trampoline_kernelINS0_14default_configENS1_22reduce_config_selectorIfEEZNS1_11reduce_implILb1ES3_N6thrust23THRUST_200600_302600_NS11hip_rocprim26transform_input_iterator_tIfNS8_17counting_iteratorIiNS8_11use_defaultESC_SC_EE11estimate_piEEPffNS8_4plusIfEEEE10hipError_tPvRmT1_T2_T3_mT4_P12ihipStream_tbEUlT_E1_NS1_11comp_targetILNS1_3genE3ELNS1_11target_archE908ELNS1_3gpuE7ELNS1_3repE0EEENS1_30default_config_static_selectorELNS0_4arch9wavefront6targetE1EEEvSM_ ; -- Begin function _ZN7rocprim17ROCPRIM_400000_NS6detail17trampoline_kernelINS0_14default_configENS1_22reduce_config_selectorIfEEZNS1_11reduce_implILb1ES3_N6thrust23THRUST_200600_302600_NS11hip_rocprim26transform_input_iterator_tIfNS8_17counting_iteratorIiNS8_11use_defaultESC_SC_EE11estimate_piEEPffNS8_4plusIfEEEE10hipError_tPvRmT1_T2_T3_mT4_P12ihipStream_tbEUlT_E1_NS1_11comp_targetILNS1_3genE3ELNS1_11target_archE908ELNS1_3gpuE7ELNS1_3repE0EEENS1_30default_config_static_selectorELNS0_4arch9wavefront6targetE1EEEvSM_
	.globl	_ZN7rocprim17ROCPRIM_400000_NS6detail17trampoline_kernelINS0_14default_configENS1_22reduce_config_selectorIfEEZNS1_11reduce_implILb1ES3_N6thrust23THRUST_200600_302600_NS11hip_rocprim26transform_input_iterator_tIfNS8_17counting_iteratorIiNS8_11use_defaultESC_SC_EE11estimate_piEEPffNS8_4plusIfEEEE10hipError_tPvRmT1_T2_T3_mT4_P12ihipStream_tbEUlT_E1_NS1_11comp_targetILNS1_3genE3ELNS1_11target_archE908ELNS1_3gpuE7ELNS1_3repE0EEENS1_30default_config_static_selectorELNS0_4arch9wavefront6targetE1EEEvSM_
	.p2align	8
	.type	_ZN7rocprim17ROCPRIM_400000_NS6detail17trampoline_kernelINS0_14default_configENS1_22reduce_config_selectorIfEEZNS1_11reduce_implILb1ES3_N6thrust23THRUST_200600_302600_NS11hip_rocprim26transform_input_iterator_tIfNS8_17counting_iteratorIiNS8_11use_defaultESC_SC_EE11estimate_piEEPffNS8_4plusIfEEEE10hipError_tPvRmT1_T2_T3_mT4_P12ihipStream_tbEUlT_E1_NS1_11comp_targetILNS1_3genE3ELNS1_11target_archE908ELNS1_3gpuE7ELNS1_3repE0EEENS1_30default_config_static_selectorELNS0_4arch9wavefront6targetE1EEEvSM_,@function
_ZN7rocprim17ROCPRIM_400000_NS6detail17trampoline_kernelINS0_14default_configENS1_22reduce_config_selectorIfEEZNS1_11reduce_implILb1ES3_N6thrust23THRUST_200600_302600_NS11hip_rocprim26transform_input_iterator_tIfNS8_17counting_iteratorIiNS8_11use_defaultESC_SC_EE11estimate_piEEPffNS8_4plusIfEEEE10hipError_tPvRmT1_T2_T3_mT4_P12ihipStream_tbEUlT_E1_NS1_11comp_targetILNS1_3genE3ELNS1_11target_archE908ELNS1_3gpuE7ELNS1_3repE0EEENS1_30default_config_static_selectorELNS0_4arch9wavefront6targetE1EEEvSM_: ; @_ZN7rocprim17ROCPRIM_400000_NS6detail17trampoline_kernelINS0_14default_configENS1_22reduce_config_selectorIfEEZNS1_11reduce_implILb1ES3_N6thrust23THRUST_200600_302600_NS11hip_rocprim26transform_input_iterator_tIfNS8_17counting_iteratorIiNS8_11use_defaultESC_SC_EE11estimate_piEEPffNS8_4plusIfEEEE10hipError_tPvRmT1_T2_T3_mT4_P12ihipStream_tbEUlT_E1_NS1_11comp_targetILNS1_3genE3ELNS1_11target_archE908ELNS1_3gpuE7ELNS1_3repE0EEENS1_30default_config_static_selectorELNS0_4arch9wavefront6targetE1EEEvSM_
; %bb.0:
	.section	.rodata,"a",@progbits
	.p2align	6, 0x0
	.amdhsa_kernel _ZN7rocprim17ROCPRIM_400000_NS6detail17trampoline_kernelINS0_14default_configENS1_22reduce_config_selectorIfEEZNS1_11reduce_implILb1ES3_N6thrust23THRUST_200600_302600_NS11hip_rocprim26transform_input_iterator_tIfNS8_17counting_iteratorIiNS8_11use_defaultESC_SC_EE11estimate_piEEPffNS8_4plusIfEEEE10hipError_tPvRmT1_T2_T3_mT4_P12ihipStream_tbEUlT_E1_NS1_11comp_targetILNS1_3genE3ELNS1_11target_archE908ELNS1_3gpuE7ELNS1_3repE0EEENS1_30default_config_static_selectorELNS0_4arch9wavefront6targetE1EEEvSM_
		.amdhsa_group_segment_fixed_size 0
		.amdhsa_private_segment_fixed_size 0
		.amdhsa_kernarg_size 40
		.amdhsa_user_sgpr_count 6
		.amdhsa_user_sgpr_private_segment_buffer 1
		.amdhsa_user_sgpr_dispatch_ptr 0
		.amdhsa_user_sgpr_queue_ptr 0
		.amdhsa_user_sgpr_kernarg_segment_ptr 1
		.amdhsa_user_sgpr_dispatch_id 0
		.amdhsa_user_sgpr_flat_scratch_init 0
		.amdhsa_user_sgpr_private_segment_size 0
		.amdhsa_uses_dynamic_stack 0
		.amdhsa_system_sgpr_private_segment_wavefront_offset 0
		.amdhsa_system_sgpr_workgroup_id_x 1
		.amdhsa_system_sgpr_workgroup_id_y 0
		.amdhsa_system_sgpr_workgroup_id_z 0
		.amdhsa_system_sgpr_workgroup_info 0
		.amdhsa_system_vgpr_workitem_id 0
		.amdhsa_next_free_vgpr 1
		.amdhsa_next_free_sgpr 0
		.amdhsa_reserve_vcc 0
		.amdhsa_reserve_flat_scratch 0
		.amdhsa_float_round_mode_32 0
		.amdhsa_float_round_mode_16_64 0
		.amdhsa_float_denorm_mode_32 3
		.amdhsa_float_denorm_mode_16_64 3
		.amdhsa_dx10_clamp 1
		.amdhsa_ieee_mode 1
		.amdhsa_fp16_overflow 0
		.amdhsa_exception_fp_ieee_invalid_op 0
		.amdhsa_exception_fp_denorm_src 0
		.amdhsa_exception_fp_ieee_div_zero 0
		.amdhsa_exception_fp_ieee_overflow 0
		.amdhsa_exception_fp_ieee_underflow 0
		.amdhsa_exception_fp_ieee_inexact 0
		.amdhsa_exception_int_div_zero 0
	.end_amdhsa_kernel
	.section	.text._ZN7rocprim17ROCPRIM_400000_NS6detail17trampoline_kernelINS0_14default_configENS1_22reduce_config_selectorIfEEZNS1_11reduce_implILb1ES3_N6thrust23THRUST_200600_302600_NS11hip_rocprim26transform_input_iterator_tIfNS8_17counting_iteratorIiNS8_11use_defaultESC_SC_EE11estimate_piEEPffNS8_4plusIfEEEE10hipError_tPvRmT1_T2_T3_mT4_P12ihipStream_tbEUlT_E1_NS1_11comp_targetILNS1_3genE3ELNS1_11target_archE908ELNS1_3gpuE7ELNS1_3repE0EEENS1_30default_config_static_selectorELNS0_4arch9wavefront6targetE1EEEvSM_,"axG",@progbits,_ZN7rocprim17ROCPRIM_400000_NS6detail17trampoline_kernelINS0_14default_configENS1_22reduce_config_selectorIfEEZNS1_11reduce_implILb1ES3_N6thrust23THRUST_200600_302600_NS11hip_rocprim26transform_input_iterator_tIfNS8_17counting_iteratorIiNS8_11use_defaultESC_SC_EE11estimate_piEEPffNS8_4plusIfEEEE10hipError_tPvRmT1_T2_T3_mT4_P12ihipStream_tbEUlT_E1_NS1_11comp_targetILNS1_3genE3ELNS1_11target_archE908ELNS1_3gpuE7ELNS1_3repE0EEENS1_30default_config_static_selectorELNS0_4arch9wavefront6targetE1EEEvSM_,comdat
.Lfunc_end30:
	.size	_ZN7rocprim17ROCPRIM_400000_NS6detail17trampoline_kernelINS0_14default_configENS1_22reduce_config_selectorIfEEZNS1_11reduce_implILb1ES3_N6thrust23THRUST_200600_302600_NS11hip_rocprim26transform_input_iterator_tIfNS8_17counting_iteratorIiNS8_11use_defaultESC_SC_EE11estimate_piEEPffNS8_4plusIfEEEE10hipError_tPvRmT1_T2_T3_mT4_P12ihipStream_tbEUlT_E1_NS1_11comp_targetILNS1_3genE3ELNS1_11target_archE908ELNS1_3gpuE7ELNS1_3repE0EEENS1_30default_config_static_selectorELNS0_4arch9wavefront6targetE1EEEvSM_, .Lfunc_end30-_ZN7rocprim17ROCPRIM_400000_NS6detail17trampoline_kernelINS0_14default_configENS1_22reduce_config_selectorIfEEZNS1_11reduce_implILb1ES3_N6thrust23THRUST_200600_302600_NS11hip_rocprim26transform_input_iterator_tIfNS8_17counting_iteratorIiNS8_11use_defaultESC_SC_EE11estimate_piEEPffNS8_4plusIfEEEE10hipError_tPvRmT1_T2_T3_mT4_P12ihipStream_tbEUlT_E1_NS1_11comp_targetILNS1_3genE3ELNS1_11target_archE908ELNS1_3gpuE7ELNS1_3repE0EEENS1_30default_config_static_selectorELNS0_4arch9wavefront6targetE1EEEvSM_
                                        ; -- End function
	.set _ZN7rocprim17ROCPRIM_400000_NS6detail17trampoline_kernelINS0_14default_configENS1_22reduce_config_selectorIfEEZNS1_11reduce_implILb1ES3_N6thrust23THRUST_200600_302600_NS11hip_rocprim26transform_input_iterator_tIfNS8_17counting_iteratorIiNS8_11use_defaultESC_SC_EE11estimate_piEEPffNS8_4plusIfEEEE10hipError_tPvRmT1_T2_T3_mT4_P12ihipStream_tbEUlT_E1_NS1_11comp_targetILNS1_3genE3ELNS1_11target_archE908ELNS1_3gpuE7ELNS1_3repE0EEENS1_30default_config_static_selectorELNS0_4arch9wavefront6targetE1EEEvSM_.num_vgpr, 0
	.set _ZN7rocprim17ROCPRIM_400000_NS6detail17trampoline_kernelINS0_14default_configENS1_22reduce_config_selectorIfEEZNS1_11reduce_implILb1ES3_N6thrust23THRUST_200600_302600_NS11hip_rocprim26transform_input_iterator_tIfNS8_17counting_iteratorIiNS8_11use_defaultESC_SC_EE11estimate_piEEPffNS8_4plusIfEEEE10hipError_tPvRmT1_T2_T3_mT4_P12ihipStream_tbEUlT_E1_NS1_11comp_targetILNS1_3genE3ELNS1_11target_archE908ELNS1_3gpuE7ELNS1_3repE0EEENS1_30default_config_static_selectorELNS0_4arch9wavefront6targetE1EEEvSM_.num_agpr, 0
	.set _ZN7rocprim17ROCPRIM_400000_NS6detail17trampoline_kernelINS0_14default_configENS1_22reduce_config_selectorIfEEZNS1_11reduce_implILb1ES3_N6thrust23THRUST_200600_302600_NS11hip_rocprim26transform_input_iterator_tIfNS8_17counting_iteratorIiNS8_11use_defaultESC_SC_EE11estimate_piEEPffNS8_4plusIfEEEE10hipError_tPvRmT1_T2_T3_mT4_P12ihipStream_tbEUlT_E1_NS1_11comp_targetILNS1_3genE3ELNS1_11target_archE908ELNS1_3gpuE7ELNS1_3repE0EEENS1_30default_config_static_selectorELNS0_4arch9wavefront6targetE1EEEvSM_.numbered_sgpr, 0
	.set _ZN7rocprim17ROCPRIM_400000_NS6detail17trampoline_kernelINS0_14default_configENS1_22reduce_config_selectorIfEEZNS1_11reduce_implILb1ES3_N6thrust23THRUST_200600_302600_NS11hip_rocprim26transform_input_iterator_tIfNS8_17counting_iteratorIiNS8_11use_defaultESC_SC_EE11estimate_piEEPffNS8_4plusIfEEEE10hipError_tPvRmT1_T2_T3_mT4_P12ihipStream_tbEUlT_E1_NS1_11comp_targetILNS1_3genE3ELNS1_11target_archE908ELNS1_3gpuE7ELNS1_3repE0EEENS1_30default_config_static_selectorELNS0_4arch9wavefront6targetE1EEEvSM_.num_named_barrier, 0
	.set _ZN7rocprim17ROCPRIM_400000_NS6detail17trampoline_kernelINS0_14default_configENS1_22reduce_config_selectorIfEEZNS1_11reduce_implILb1ES3_N6thrust23THRUST_200600_302600_NS11hip_rocprim26transform_input_iterator_tIfNS8_17counting_iteratorIiNS8_11use_defaultESC_SC_EE11estimate_piEEPffNS8_4plusIfEEEE10hipError_tPvRmT1_T2_T3_mT4_P12ihipStream_tbEUlT_E1_NS1_11comp_targetILNS1_3genE3ELNS1_11target_archE908ELNS1_3gpuE7ELNS1_3repE0EEENS1_30default_config_static_selectorELNS0_4arch9wavefront6targetE1EEEvSM_.private_seg_size, 0
	.set _ZN7rocprim17ROCPRIM_400000_NS6detail17trampoline_kernelINS0_14default_configENS1_22reduce_config_selectorIfEEZNS1_11reduce_implILb1ES3_N6thrust23THRUST_200600_302600_NS11hip_rocprim26transform_input_iterator_tIfNS8_17counting_iteratorIiNS8_11use_defaultESC_SC_EE11estimate_piEEPffNS8_4plusIfEEEE10hipError_tPvRmT1_T2_T3_mT4_P12ihipStream_tbEUlT_E1_NS1_11comp_targetILNS1_3genE3ELNS1_11target_archE908ELNS1_3gpuE7ELNS1_3repE0EEENS1_30default_config_static_selectorELNS0_4arch9wavefront6targetE1EEEvSM_.uses_vcc, 0
	.set _ZN7rocprim17ROCPRIM_400000_NS6detail17trampoline_kernelINS0_14default_configENS1_22reduce_config_selectorIfEEZNS1_11reduce_implILb1ES3_N6thrust23THRUST_200600_302600_NS11hip_rocprim26transform_input_iterator_tIfNS8_17counting_iteratorIiNS8_11use_defaultESC_SC_EE11estimate_piEEPffNS8_4plusIfEEEE10hipError_tPvRmT1_T2_T3_mT4_P12ihipStream_tbEUlT_E1_NS1_11comp_targetILNS1_3genE3ELNS1_11target_archE908ELNS1_3gpuE7ELNS1_3repE0EEENS1_30default_config_static_selectorELNS0_4arch9wavefront6targetE1EEEvSM_.uses_flat_scratch, 0
	.set _ZN7rocprim17ROCPRIM_400000_NS6detail17trampoline_kernelINS0_14default_configENS1_22reduce_config_selectorIfEEZNS1_11reduce_implILb1ES3_N6thrust23THRUST_200600_302600_NS11hip_rocprim26transform_input_iterator_tIfNS8_17counting_iteratorIiNS8_11use_defaultESC_SC_EE11estimate_piEEPffNS8_4plusIfEEEE10hipError_tPvRmT1_T2_T3_mT4_P12ihipStream_tbEUlT_E1_NS1_11comp_targetILNS1_3genE3ELNS1_11target_archE908ELNS1_3gpuE7ELNS1_3repE0EEENS1_30default_config_static_selectorELNS0_4arch9wavefront6targetE1EEEvSM_.has_dyn_sized_stack, 0
	.set _ZN7rocprim17ROCPRIM_400000_NS6detail17trampoline_kernelINS0_14default_configENS1_22reduce_config_selectorIfEEZNS1_11reduce_implILb1ES3_N6thrust23THRUST_200600_302600_NS11hip_rocprim26transform_input_iterator_tIfNS8_17counting_iteratorIiNS8_11use_defaultESC_SC_EE11estimate_piEEPffNS8_4plusIfEEEE10hipError_tPvRmT1_T2_T3_mT4_P12ihipStream_tbEUlT_E1_NS1_11comp_targetILNS1_3genE3ELNS1_11target_archE908ELNS1_3gpuE7ELNS1_3repE0EEENS1_30default_config_static_selectorELNS0_4arch9wavefront6targetE1EEEvSM_.has_recursion, 0
	.set _ZN7rocprim17ROCPRIM_400000_NS6detail17trampoline_kernelINS0_14default_configENS1_22reduce_config_selectorIfEEZNS1_11reduce_implILb1ES3_N6thrust23THRUST_200600_302600_NS11hip_rocprim26transform_input_iterator_tIfNS8_17counting_iteratorIiNS8_11use_defaultESC_SC_EE11estimate_piEEPffNS8_4plusIfEEEE10hipError_tPvRmT1_T2_T3_mT4_P12ihipStream_tbEUlT_E1_NS1_11comp_targetILNS1_3genE3ELNS1_11target_archE908ELNS1_3gpuE7ELNS1_3repE0EEENS1_30default_config_static_selectorELNS0_4arch9wavefront6targetE1EEEvSM_.has_indirect_call, 0
	.section	.AMDGPU.csdata,"",@progbits
; Kernel info:
; codeLenInByte = 0
; TotalNumSgprs: 4
; NumVgprs: 0
; ScratchSize: 0
; MemoryBound: 0
; FloatMode: 240
; IeeeMode: 1
; LDSByteSize: 0 bytes/workgroup (compile time only)
; SGPRBlocks: 0
; VGPRBlocks: 0
; NumSGPRsForWavesPerEU: 4
; NumVGPRsForWavesPerEU: 1
; Occupancy: 10
; WaveLimiterHint : 0
; COMPUTE_PGM_RSRC2:SCRATCH_EN: 0
; COMPUTE_PGM_RSRC2:USER_SGPR: 6
; COMPUTE_PGM_RSRC2:TRAP_HANDLER: 0
; COMPUTE_PGM_RSRC2:TGID_X_EN: 1
; COMPUTE_PGM_RSRC2:TGID_Y_EN: 0
; COMPUTE_PGM_RSRC2:TGID_Z_EN: 0
; COMPUTE_PGM_RSRC2:TIDIG_COMP_CNT: 0
	.text
	.p2align	2                               ; -- Begin function _ZN7rocprim17ROCPRIM_400000_NS6detail18constexpr_for_implIZZNS1_11reduce_implILb1ENS0_14default_configEN6thrust23THRUST_200600_302600_NS11hip_rocprim26transform_input_iterator_tIfNS6_17counting_iteratorIiNS6_11use_defaultESA_SA_EE11estimate_piEEPffNS6_4plusIfEEEE10hipError_tPvRmT1_T2_T3_mT4_P12ihipStream_tbENUlT_E1_clINS1_13target_configIS4_NS1_22reduce_config_selectorIfEENS1_11comp_targetILNS1_3genE2ELNS1_11target_archE906ELNS1_3gpuE6ELNS1_3repE0EEELNS0_4arch9wavefront6targetE1EEEEEDaSQ_EUlSQ_E_TnDaLi0ETnDaLi1EJLm0ELm1ELm2ELm3ELm4ELm5EEEEvOSQ_St16integer_sequenceImJXspT2_EEE
	.type	_ZN7rocprim17ROCPRIM_400000_NS6detail18constexpr_for_implIZZNS1_11reduce_implILb1ENS0_14default_configEN6thrust23THRUST_200600_302600_NS11hip_rocprim26transform_input_iterator_tIfNS6_17counting_iteratorIiNS6_11use_defaultESA_SA_EE11estimate_piEEPffNS6_4plusIfEEEE10hipError_tPvRmT1_T2_T3_mT4_P12ihipStream_tbENUlT_E1_clINS1_13target_configIS4_NS1_22reduce_config_selectorIfEENS1_11comp_targetILNS1_3genE2ELNS1_11target_archE906ELNS1_3gpuE6ELNS1_3repE0EEELNS0_4arch9wavefront6targetE1EEEEEDaSQ_EUlSQ_E_TnDaLi0ETnDaLi1EJLm0ELm1ELm2ELm3ELm4ELm5EEEEvOSQ_St16integer_sequenceImJXspT2_EEE,@function
_ZN7rocprim17ROCPRIM_400000_NS6detail18constexpr_for_implIZZNS1_11reduce_implILb1ENS0_14default_configEN6thrust23THRUST_200600_302600_NS11hip_rocprim26transform_input_iterator_tIfNS6_17counting_iteratorIiNS6_11use_defaultESA_SA_EE11estimate_piEEPffNS6_4plusIfEEEE10hipError_tPvRmT1_T2_T3_mT4_P12ihipStream_tbENUlT_E1_clINS1_13target_configIS4_NS1_22reduce_config_selectorIfEENS1_11comp_targetILNS1_3genE2ELNS1_11target_archE906ELNS1_3gpuE6ELNS1_3repE0EEELNS0_4arch9wavefront6targetE1EEEEEDaSQ_EUlSQ_E_TnDaLi0ETnDaLi1EJLm0ELm1ELm2ELm3ELm4ELm5EEEEvOSQ_St16integer_sequenceImJXspT2_EEE: ; @_ZN7rocprim17ROCPRIM_400000_NS6detail18constexpr_for_implIZZNS1_11reduce_implILb1ENS0_14default_configEN6thrust23THRUST_200600_302600_NS11hip_rocprim26transform_input_iterator_tIfNS6_17counting_iteratorIiNS6_11use_defaultESA_SA_EE11estimate_piEEPffNS6_4plusIfEEEE10hipError_tPvRmT1_T2_T3_mT4_P12ihipStream_tbENUlT_E1_clINS1_13target_configIS4_NS1_22reduce_config_selectorIfEENS1_11comp_targetILNS1_3genE2ELNS1_11target_archE906ELNS1_3gpuE6ELNS1_3repE0EEELNS0_4arch9wavefront6targetE1EEEEEDaSQ_EUlSQ_E_TnDaLi0ETnDaLi1EJLm0ELm1ELm2ELm3ELm4ELm5EEEEvOSQ_St16integer_sequenceImJXspT2_EEE
; %bb.0:
	s_waitcnt vmcnt(0) expcnt(0) lgkmcnt(0)
	s_or_saveexec_b64 s[4:5], -1
	buffer_store_dword v40, off, s[0:3], s32 ; 4-byte Folded Spill
	s_mov_b64 exec, s[4:5]
	v_writelane_b32 v40, s30, 0
	v_writelane_b32 v40, s31, 1
	flat_load_dwordx2 v[2:3], v[0:1]
	s_waitcnt vmcnt(0) lgkmcnt(0)
	flat_load_dword v2, v[2:3]
	s_waitcnt vmcnt(0) lgkmcnt(0)
	v_cmp_eq_u32_e32 vcc, 1, v2
	s_and_saveexec_b64 s[6:7], vcc
	s_cbranch_execz .LBB31_5
; %bb.1:
	flat_load_dwordx4 v[7:10], v[0:1] offset:8
	flat_load_dwordx4 v[13:16], v[0:1] offset:24
	s_mov_b32 s13, 0
	s_lshl_b32 s18, s12, 8
	s_waitcnt vmcnt(0) lgkmcnt(0)
	flat_load_dwordx2 v[2:3], v[9:10]
	flat_load_dword v6, v[7:8]
	flat_load_dwordx2 v[4:5], v[13:14]
	flat_load_dword v12, v[15:16]
	v_and_b32_e32 v13, 0x3ff, v31
	s_waitcnt vmcnt(0) lgkmcnt(0)
	v_lshrrev_b64 v[7:8], 8, v[2:3]
	v_cmp_ne_u64_e32 vcc, s[12:13], v[7:8]
                                        ; implicit-def: $vgpr7
	s_and_saveexec_b64 s[4:5], vcc
	s_xor_b64 s[8:9], exec, s[4:5]
	s_cbranch_execnz .LBB31_31
; %bb.2:
	s_andn2_saveexec_b64 s[8:9], s[8:9]
	s_cbranch_execnz .LBB31_69
.LBB31_3:
	s_or_b64 exec, exec, s[8:9]
	v_cmp_eq_u32_e32 vcc, 0, v13
	s_and_b64 exec, exec, vcc
	s_cbranch_execz .LBB31_5
.LBB31_4:
	v_cmp_eq_u64_e32 vcc, 0, v[2:3]
	v_add_f32_e32 v6, v12, v7
	s_lshl_b64 s[4:5], s[12:13], 2
	v_cndmask_b32_e32 v6, v6, v12, vcc
	v_mov_b32_e32 v3, s5
	v_add_co_u32_e32 v2, vcc, s4, v4
	v_addc_co_u32_e32 v3, vcc, v5, v3, vcc
	flat_store_dword v[2:3], v6
.LBB31_5:
	s_or_b64 exec, exec, s[6:7]
	flat_load_dwordx2 v[2:3], v[0:1]
	s_waitcnt vmcnt(0) lgkmcnt(0)
	flat_load_dword v2, v[2:3]
	s_waitcnt vmcnt(0) lgkmcnt(0)
	v_cmp_eq_u32_e32 vcc, 2, v2
	s_and_saveexec_b64 s[8:9], vcc
	s_cbranch_execz .LBB31_10
; %bb.6:
	flat_load_dwordx4 v[6:9], v[0:1] offset:8
	flat_load_dwordx4 v[14:17], v[0:1] offset:24
	s_mov_b32 s13, 0
	s_lshl_b32 s18, s12, 9
	s_waitcnt vmcnt(0) lgkmcnt(0)
	flat_load_dwordx2 v[2:3], v[8:9]
	flat_load_dword v10, v[6:7]
	flat_load_dwordx2 v[4:5], v[14:15]
	flat_load_dword v13, v[16:17]
	v_and_b32_e32 v14, 0x3ff, v31
	s_waitcnt vmcnt(0) lgkmcnt(0)
	v_lshrrev_b64 v[6:7], 9, v[2:3]
	v_add_u32_e32 v15, s18, v10
	v_cmp_ne_u64_e32 vcc, s[12:13], v[6:7]
                                        ; implicit-def: $vgpr7
	s_and_saveexec_b64 s[4:5], vcc
	s_xor_b64 s[6:7], exec, s[4:5]
	s_cbranch_execnz .LBB31_36
; %bb.7:
	s_andn2_saveexec_b64 s[10:11], s[6:7]
	s_cbranch_execnz .LBB31_123
.LBB31_8:
	s_or_b64 exec, exec, s[10:11]
	v_cmp_eq_u32_e32 vcc, 0, v14
	s_and_b64 exec, exec, vcc
	s_cbranch_execz .LBB31_10
.LBB31_9:
	v_cmp_eq_u64_e32 vcc, 0, v[2:3]
	v_add_f32_e32 v6, v13, v7
	s_lshl_b64 s[4:5], s[12:13], 2
	v_cndmask_b32_e32 v6, v6, v13, vcc
	v_mov_b32_e32 v3, s5
	v_add_co_u32_e32 v2, vcc, s4, v4
	v_addc_co_u32_e32 v3, vcc, v5, v3, vcc
	flat_store_dword v[2:3], v6
.LBB31_10:
	s_or_b64 exec, exec, s[8:9]
	flat_load_dwordx2 v[2:3], v[0:1]
	s_waitcnt vmcnt(0) lgkmcnt(0)
	flat_load_dword v2, v[2:3]
	s_waitcnt vmcnt(0) lgkmcnt(0)
	v_cmp_eq_u32_e32 vcc, 4, v2
	s_and_saveexec_b64 s[14:15], vcc
	s_cbranch_execz .LBB31_15
; %bb.11:
	flat_load_dwordx4 v[6:9], v[0:1] offset:8
	flat_load_dwordx4 v[14:17], v[0:1] offset:24
	s_mov_b32 s13, 0
	s_lshl_b32 s18, s12, 10
	s_waitcnt vmcnt(0) lgkmcnt(0)
	flat_load_dwordx2 v[2:3], v[8:9]
	flat_load_dword v10, v[6:7]
	flat_load_dwordx2 v[4:5], v[14:15]
	flat_load_dword v13, v[16:17]
	v_and_b32_e32 v14, 0x3ff, v31
	s_waitcnt vmcnt(0) lgkmcnt(0)
	v_lshrrev_b64 v[6:7], 10, v[2:3]
	v_add_u32_e32 v15, s18, v10
	v_cmp_ne_u64_e32 vcc, s[12:13], v[6:7]
                                        ; implicit-def: $vgpr7
	s_and_saveexec_b64 s[4:5], vcc
	s_xor_b64 s[10:11], exec, s[4:5]
	s_cbranch_execnz .LBB31_41
; %bb.12:
	s_andn2_saveexec_b64 s[16:17], s[10:11]
	s_cbranch_execnz .LBB31_201
.LBB31_13:
	s_or_b64 exec, exec, s[16:17]
	v_cmp_eq_u32_e32 vcc, 0, v14
	s_and_b64 exec, exec, vcc
	s_cbranch_execz .LBB31_15
.LBB31_14:
	v_cmp_eq_u64_e32 vcc, 0, v[2:3]
	v_add_f32_e32 v6, v13, v7
	s_lshl_b64 s[4:5], s[12:13], 2
	v_cndmask_b32_e32 v6, v6, v13, vcc
	v_mov_b32_e32 v3, s5
	v_add_co_u32_e32 v2, vcc, s4, v4
	v_addc_co_u32_e32 v3, vcc, v5, v3, vcc
	flat_store_dword v[2:3], v6
.LBB31_15:
	s_or_b64 exec, exec, s[14:15]
	flat_load_dwordx2 v[2:3], v[0:1]
	s_waitcnt vmcnt(0) lgkmcnt(0)
	flat_load_dword v2, v[2:3]
	s_waitcnt vmcnt(0) lgkmcnt(0)
	v_cmp_eq_u32_e32 vcc, 8, v2
	s_and_saveexec_b64 s[22:23], vcc
	s_cbranch_execz .LBB31_20
; %bb.16:
	flat_load_dwordx4 v[6:9], v[0:1] offset:8
	flat_load_dwordx4 v[14:17], v[0:1] offset:24
	s_mov_b32 s13, 0
	s_lshl_b32 s16, s12, 11
	s_waitcnt vmcnt(0) lgkmcnt(0)
	flat_load_dwordx2 v[2:3], v[8:9]
	flat_load_dword v10, v[6:7]
	flat_load_dwordx2 v[4:5], v[14:15]
	flat_load_dword v13, v[16:17]
	v_and_b32_e32 v14, 0x3ff, v31
	s_waitcnt vmcnt(0) lgkmcnt(0)
	v_lshrrev_b64 v[6:7], 11, v[2:3]
	v_add_u32_e32 v15, s16, v10
	v_cmp_ne_u64_e32 vcc, s[12:13], v[6:7]
                                        ; implicit-def: $vgpr7
	s_and_saveexec_b64 s[4:5], vcc
	s_xor_b64 s[10:11], exec, s[4:5]
	s_cbranch_execnz .LBB31_46
; %bb.17:
	s_andn2_saveexec_b64 s[24:25], s[10:11]
	s_cbranch_execnz .LBB31_311
.LBB31_18:
	s_or_b64 exec, exec, s[24:25]
	v_cmp_eq_u32_e32 vcc, 0, v14
	s_and_b64 exec, exec, vcc
	s_cbranch_execz .LBB31_20
.LBB31_19:
	v_cmp_eq_u64_e32 vcc, 0, v[2:3]
	v_add_f32_e32 v6, v13, v7
	s_lshl_b64 s[4:5], s[12:13], 2
	v_cndmask_b32_e32 v6, v6, v13, vcc
	v_mov_b32_e32 v3, s5
	v_add_co_u32_e32 v2, vcc, s4, v4
	v_addc_co_u32_e32 v3, vcc, v5, v3, vcc
	flat_store_dword v[2:3], v6
.LBB31_20:
	s_or_b64 exec, exec, s[22:23]
	flat_load_dwordx2 v[2:3], v[0:1]
	s_waitcnt vmcnt(0) lgkmcnt(0)
	flat_load_dword v2, v[2:3]
	s_waitcnt vmcnt(0) lgkmcnt(0)
	v_cmp_eq_u32_e32 vcc, 16, v2
	s_and_saveexec_b64 s[56:57], vcc
	s_cbranch_execz .LBB31_25
; %bb.21:
	flat_load_dwordx4 v[6:9], v[0:1] offset:8
	flat_load_dwordx4 v[14:17], v[0:1] offset:24
	s_mov_b32 s13, 0
	s_lshl_b32 s16, s12, 12
	s_waitcnt vmcnt(0) lgkmcnt(0)
	flat_load_dwordx2 v[2:3], v[8:9]
	flat_load_dword v10, v[6:7]
	flat_load_dwordx2 v[4:5], v[14:15]
	flat_load_dword v13, v[16:17]
	v_and_b32_e32 v14, 0x3ff, v31
	s_waitcnt vmcnt(0) lgkmcnt(0)
	v_lshrrev_b64 v[6:7], 12, v[2:3]
	v_add_u32_e32 v15, s16, v10
	v_cmp_ne_u64_e32 vcc, s[12:13], v[6:7]
                                        ; implicit-def: $vgpr7
	s_and_saveexec_b64 s[4:5], vcc
	s_xor_b64 s[10:11], exec, s[4:5]
	s_cbranch_execnz .LBB31_51
; %bb.22:
	s_andn2_saveexec_b64 s[58:59], s[10:11]
	s_cbranch_execnz .LBB31_453
.LBB31_23:
	s_or_b64 exec, exec, s[58:59]
	v_cmp_eq_u32_e32 vcc, 0, v14
	s_and_b64 exec, exec, vcc
	s_cbranch_execz .LBB31_25
.LBB31_24:
	v_cmp_eq_u64_e32 vcc, 0, v[2:3]
	v_add_f32_e32 v6, v13, v7
	s_lshl_b64 s[4:5], s[12:13], 2
	v_cndmask_b32_e32 v6, v6, v13, vcc
	v_mov_b32_e32 v3, s5
	v_add_co_u32_e32 v2, vcc, s4, v4
	v_addc_co_u32_e32 v3, vcc, v5, v3, vcc
	flat_store_dword v[2:3], v6
.LBB31_25:
	s_or_b64 exec, exec, s[56:57]
	flat_load_dwordx2 v[2:3], v[0:1]
	s_waitcnt vmcnt(0) lgkmcnt(0)
	flat_load_dword v2, v[2:3]
	s_waitcnt vmcnt(0) lgkmcnt(0)
	v_cmp_eq_u32_e32 vcc, 32, v2
	s_and_saveexec_b64 s[48:49], vcc
	s_cbranch_execz .LBB31_30
; %bb.26:
	flat_load_dwordx4 v[4:7], v[0:1] offset:8
	flat_load_dwordx4 v[12:15], v[0:1] offset:24
	s_mov_b32 s13, 0
	s_lshl_b32 s16, s12, 13
	s_waitcnt vmcnt(0) lgkmcnt(0)
	flat_load_dwordx2 v[0:1], v[6:7]
	flat_load_dword v8, v[4:5]
	flat_load_dwordx2 v[2:3], v[12:13]
	flat_load_dword v11, v[14:15]
	v_and_b32_e32 v12, 0x3ff, v31
	s_waitcnt vmcnt(0) lgkmcnt(0)
	v_lshrrev_b64 v[4:5], 13, v[0:1]
	v_add_u32_e32 v13, s16, v8
	v_cmp_ne_u64_e32 vcc, s[12:13], v[4:5]
                                        ; implicit-def: $vgpr5
	s_and_saveexec_b64 s[4:5], vcc
	s_xor_b64 s[10:11], exec, s[4:5]
	s_cbranch_execnz .LBB31_56
; %bb.27:
	s_andn2_saveexec_b64 s[50:51], s[10:11]
	s_cbranch_execnz .LBB31_595
.LBB31_28:
	s_or_b64 exec, exec, s[50:51]
	v_cmp_eq_u32_e32 vcc, 0, v12
	s_and_b64 exec, exec, vcc
	s_cbranch_execz .LBB31_30
.LBB31_29:
	v_cmp_eq_u64_e32 vcc, 0, v[0:1]
	v_add_f32_e32 v4, v11, v5
	s_lshl_b64 s[4:5], s[12:13], 2
	v_cndmask_b32_e32 v4, v4, v11, vcc
	v_mov_b32_e32 v1, s5
	v_add_co_u32_e32 v0, vcc, s4, v2
	v_addc_co_u32_e32 v1, vcc, v3, v1, vcc
	flat_store_dword v[0:1], v4
.LBB31_30:
	s_or_b64 exec, exec, s[48:49]
	v_readlane_b32 s30, v40, 0
	v_readlane_b32 s31, v40, 1
	s_or_saveexec_b64 s[4:5], -1
	buffer_load_dword v40, off, s[0:3], s32 ; 4-byte Folded Reload
	s_mov_b64 exec, s[4:5]
	s_waitcnt vmcnt(0) lgkmcnt(0)
	s_setpc_b64 s[30:31]
.LBB31_31:
	v_add3_u32 v6, s18, v13, v6
	s_movk_i32 s4, 0x1388
	v_mul_lo_u32 v6, v6, s4
	v_mov_b32_e32 v8, 1
	v_cmp_ne_u32_e32 vcc, 0, v6
	s_and_saveexec_b64 s[4:5], vcc
	s_cbranch_execz .LBB31_62
; %bb.32:
	v_mov_b32_e32 v7, 0
	v_mov_b32_e32 v10, 1
	;; [unrolled: 1-line block ×3, first 2 shown]
	s_mov_b64 s[14:15], 0xbc8f
	v_mov_b32_e32 v11, 0
	s_mov_b64 s[10:11], 0
	s_brev_b32 s19, -2
	v_mov_b32_e32 v8, v6
	s_branch .LBB31_34
.LBB31_33:                              ;   in Loop: Header=BB31_34 Depth=1
	s_or_b64 exec, exec, s[16:17]
	s_mul_i32 s15, s14, s15
	s_mul_hi_u32 s16, s14, s14
	s_add_i32 s16, s16, s15
	s_add_i32 s16, s16, s15
	s_mul_i32 s17, s14, s14
	s_mul_i32 s15, s16, 3
	s_mul_hi_u32 s20, s17, 3
	s_mul_hi_u32 s14, s16, 3
	s_add_u32 s15, s15, s20
	s_addc_u32 s14, s14, 0
	s_mul_i32 s21, s17, 0x80000001
	s_mul_hi_u32 s20, s17, 0x80000001
	s_add_u32 s15, s21, s15
	s_addc_u32 s15, s20, 0
	s_add_u32 s14, s14, s15
	s_addc_u32 s15, 0, 0
	s_mul_i32 s21, s16, 0x80000001
	s_mul_hi_u32 s20, s16, 0x80000001
	s_add_u32 s14, s21, s14
	s_addc_u32 s15, s20, s15
	s_lshr_b32 s20, s15, 30
	s_lshr_b64 s[14:15], s[14:15], 30
	s_mul_i32 s20, s20, 0x7fffffff
	s_mul_hi_u32 s15, s14, 0x7fffffff
	v_lshrrev_b64 v[14:15], 1, v[8:9]
	s_add_i32 s15, s15, s20
	s_mul_i32 s14, s14, 0x7fffffff
	s_sub_u32 s14, s17, s14
	v_cmp_gt_u64_e32 vcc, 2, v[8:9]
	s_subb_u32 s15, s16, s15
	v_mov_b32_e32 v8, v14
	s_or_b64 s[10:11], vcc, s[10:11]
	v_mov_b32_e32 v9, v15
	s_andn2_b64 exec, exec, s[10:11]
	s_cbranch_execz .LBB31_61
.LBB31_34:                              ; =>This Inner Loop Header: Depth=1
	v_and_b32_e32 v6, 1, v8
	v_cmp_eq_u32_e32 vcc, 1, v6
	s_and_saveexec_b64 s[16:17], vcc
	s_cbranch_execz .LBB31_33
; %bb.35:                               ;   in Loop: Header=BB31_34 Depth=1
	v_mad_u64_u32 v[14:15], s[20:21], s14, v10, 0
	v_mul_lo_u32 v10, s15, v10
	v_mul_lo_u32 v11, s14, v11
	v_mul_hi_u32 v6, v14, 5
	v_add3_u32 v17, v15, v11, v10
	v_mad_u64_u32 v[10:11], s[20:21], v17, 5, v[6:7]
	v_mov_b32_e32 v6, v10
	v_mad_u64_u32 v[15:16], s[20:21], v14, 2, v[6:7]
	v_add_co_u32_e32 v10, vcc, v11, v16
	v_addc_co_u32_e64 v11, s[20:21], 0, 0, vcc
	v_mad_u64_u32 v[10:11], s[20:21], v17, 2, v[10:11]
	v_sub_co_u32_e32 v15, vcc, v14, v10
	v_subb_co_u32_e32 v16, vcc, v17, v11, vcc
	v_lshrrev_b64 v[15:16], 1, v[15:16]
	v_add_co_u32_e32 v6, vcc, v15, v10
	v_addc_co_u32_e32 v15, vcc, v16, v11, vcc
	v_alignbit_b32 v6, v15, v6, 30
	v_mad_u64_u32 v[10:11], s[20:21], v6, s19, 0
	v_lshrrev_b32_e32 v15, 30, v15
	v_mov_b32_e32 v6, v11
	v_mad_u64_u32 v[15:16], s[20:21], v15, s19, v[6:7]
	v_sub_co_u32_e32 v10, vcc, v14, v10
	v_subb_co_u32_e32 v11, vcc, v17, v15, vcc
	s_branch .LBB31_33
.LBB31_36:
	v_add_u32_e32 v6, v15, v14
	s_movk_i32 s4, 0x1388
	v_mul_lo_u32 v6, v6, s4
	v_mov_b32_e32 v8, 1
	v_cmp_ne_u32_e32 vcc, 0, v6
	s_and_saveexec_b64 s[4:5], vcc
	s_cbranch_execz .LBB31_76
; %bb.37:
	v_mov_b32_e32 v8, 0
	v_mov_b32_e32 v7, v8
	;; [unrolled: 1-line block ×4, first 2 shown]
	s_mov_b64 s[14:15], 0xbc8f
	v_mov_b32_e32 v12, 0
	s_mov_b64 s[10:11], 0
	s_brev_b32 s19, -2
	v_mov_b32_e32 v9, v6
	s_branch .LBB31_39
.LBB31_38:                              ;   in Loop: Header=BB31_39 Depth=1
	s_or_b64 exec, exec, s[16:17]
	s_mul_i32 s15, s14, s15
	s_mul_hi_u32 s16, s14, s14
	s_add_i32 s16, s16, s15
	s_add_i32 s16, s16, s15
	s_mul_i32 s17, s14, s14
	s_mul_i32 s15, s16, 3
	s_mul_hi_u32 s20, s17, 3
	s_mul_hi_u32 s14, s16, 3
	s_add_u32 s15, s15, s20
	s_addc_u32 s14, s14, 0
	s_mul_i32 s21, s17, 0x80000001
	s_mul_hi_u32 s20, s17, 0x80000001
	s_add_u32 s15, s21, s15
	s_addc_u32 s15, s20, 0
	s_add_u32 s14, s14, s15
	s_addc_u32 s15, 0, 0
	s_mul_i32 s21, s16, 0x80000001
	s_mul_hi_u32 s20, s16, 0x80000001
	s_add_u32 s14, s21, s14
	s_addc_u32 s15, s20, s15
	s_lshr_b32 s20, s15, 30
	s_lshr_b64 s[14:15], s[14:15], 30
	s_mul_i32 s20, s20, 0x7fffffff
	s_mul_hi_u32 s15, s14, 0x7fffffff
	v_lshrrev_b64 v[15:16], 1, v[9:10]
	s_add_i32 s15, s15, s20
	s_mul_i32 s14, s14, 0x7fffffff
	s_sub_u32 s14, s17, s14
	v_cmp_gt_u64_e32 vcc, 2, v[9:10]
	s_subb_u32 s15, s16, s15
	v_mov_b32_e32 v9, v15
	s_or_b64 s[10:11], vcc, s[10:11]
	v_mov_b32_e32 v10, v16
	s_andn2_b64 exec, exec, s[10:11]
	s_cbranch_execz .LBB31_75
.LBB31_39:                              ; =>This Inner Loop Header: Depth=1
	v_and_b32_e32 v7, 1, v9
	v_cmp_eq_u32_e32 vcc, 1, v7
	s_and_saveexec_b64 s[16:17], vcc
	s_cbranch_execz .LBB31_38
; %bb.40:                               ;   in Loop: Header=BB31_39 Depth=1
	v_mad_u64_u32 v[15:16], s[20:21], s14, v11, 0
	v_mul_lo_u32 v11, s15, v11
	v_mul_lo_u32 v12, s14, v12
	v_mul_hi_u32 v7, v15, 5
	v_add3_u32 v18, v16, v12, v11
	v_mad_u64_u32 v[11:12], s[20:21], v18, 5, v[7:8]
	v_mov_b32_e32 v7, v11
	v_mad_u64_u32 v[16:17], s[20:21], v15, 2, v[7:8]
	v_add_co_u32_e32 v11, vcc, v12, v17
	v_addc_co_u32_e64 v12, s[20:21], 0, 0, vcc
	v_mad_u64_u32 v[11:12], s[20:21], v18, 2, v[11:12]
	v_sub_co_u32_e32 v16, vcc, v15, v11
	v_subb_co_u32_e32 v17, vcc, v18, v12, vcc
	v_lshrrev_b64 v[16:17], 1, v[16:17]
	v_add_co_u32_e32 v7, vcc, v16, v11
	v_addc_co_u32_e32 v16, vcc, v17, v12, vcc
	v_alignbit_b32 v7, v16, v7, 30
	v_mad_u64_u32 v[11:12], s[20:21], v7, s19, 0
	v_lshrrev_b32_e32 v16, 30, v16
	v_mov_b32_e32 v7, v12
	v_mad_u64_u32 v[16:17], s[20:21], v16, s19, v[7:8]
	v_sub_co_u32_e32 v11, vcc, v15, v11
	v_subb_co_u32_e32 v12, vcc, v18, v16, vcc
	s_branch .LBB31_38
.LBB31_41:
	v_add_u32_e32 v6, v15, v14
	s_movk_i32 s4, 0x1388
	v_mul_lo_u32 v6, v6, s4
	v_mov_b32_e32 v8, 1
	v_cmp_ne_u32_e32 vcc, 0, v6
	s_and_saveexec_b64 s[4:5], vcc
	s_cbranch_execz .LBB31_84
; %bb.42:
	v_mov_b32_e32 v8, 0
	v_mov_b32_e32 v7, v8
	;; [unrolled: 1-line block ×4, first 2 shown]
	s_mov_b64 s[8:9], 0xbc8f
	v_mov_b32_e32 v12, 0
	s_mov_b64 s[6:7], 0
	s_brev_b32 s19, -2
	v_mov_b32_e32 v9, v6
	s_branch .LBB31_44
.LBB31_43:                              ;   in Loop: Header=BB31_44 Depth=1
	s_or_b64 exec, exec, s[16:17]
	s_mul_i32 s9, s8, s9
	s_mul_hi_u32 s16, s8, s8
	s_add_i32 s16, s16, s9
	s_add_i32 s16, s16, s9
	s_mul_i32 s17, s8, s8
	s_mul_i32 s9, s16, 3
	s_mul_hi_u32 s20, s17, 3
	s_mul_hi_u32 s8, s16, 3
	s_add_u32 s9, s9, s20
	s_addc_u32 s8, s8, 0
	s_mul_i32 s21, s17, 0x80000001
	s_mul_hi_u32 s20, s17, 0x80000001
	s_add_u32 s9, s21, s9
	s_addc_u32 s9, s20, 0
	s_add_u32 s8, s8, s9
	s_addc_u32 s9, 0, 0
	s_mul_i32 s21, s16, 0x80000001
	s_mul_hi_u32 s20, s16, 0x80000001
	s_add_u32 s8, s21, s8
	s_addc_u32 s9, s20, s9
	s_lshr_b32 s20, s9, 30
	s_lshr_b64 s[8:9], s[8:9], 30
	s_mul_i32 s20, s20, 0x7fffffff
	s_mul_hi_u32 s9, s8, 0x7fffffff
	v_lshrrev_b64 v[15:16], 1, v[9:10]
	s_add_i32 s9, s9, s20
	s_mul_i32 s8, s8, 0x7fffffff
	s_sub_u32 s8, s17, s8
	v_cmp_gt_u64_e32 vcc, 2, v[9:10]
	s_subb_u32 s9, s16, s9
	v_mov_b32_e32 v9, v15
	s_or_b64 s[6:7], vcc, s[6:7]
	v_mov_b32_e32 v10, v16
	s_andn2_b64 exec, exec, s[6:7]
	s_cbranch_execz .LBB31_83
.LBB31_44:                              ; =>This Inner Loop Header: Depth=1
	v_and_b32_e32 v7, 1, v9
	v_cmp_eq_u32_e32 vcc, 1, v7
	s_and_saveexec_b64 s[16:17], vcc
	s_cbranch_execz .LBB31_43
; %bb.45:                               ;   in Loop: Header=BB31_44 Depth=1
	v_mad_u64_u32 v[15:16], s[20:21], s8, v11, 0
	v_mul_lo_u32 v11, s9, v11
	v_mul_lo_u32 v12, s8, v12
	v_mul_hi_u32 v7, v15, 5
	v_add3_u32 v18, v16, v12, v11
	v_mad_u64_u32 v[11:12], s[20:21], v18, 5, v[7:8]
	v_mov_b32_e32 v7, v11
	v_mad_u64_u32 v[16:17], s[20:21], v15, 2, v[7:8]
	v_add_co_u32_e32 v11, vcc, v12, v17
	v_addc_co_u32_e64 v12, s[20:21], 0, 0, vcc
	v_mad_u64_u32 v[11:12], s[20:21], v18, 2, v[11:12]
	v_sub_co_u32_e32 v16, vcc, v15, v11
	v_subb_co_u32_e32 v17, vcc, v18, v12, vcc
	v_lshrrev_b64 v[16:17], 1, v[16:17]
	v_add_co_u32_e32 v7, vcc, v16, v11
	v_addc_co_u32_e32 v16, vcc, v17, v12, vcc
	v_alignbit_b32 v7, v16, v7, 30
	v_mad_u64_u32 v[11:12], s[20:21], v7, s19, 0
	v_lshrrev_b32_e32 v16, 30, v16
	v_mov_b32_e32 v7, v12
	v_mad_u64_u32 v[16:17], s[20:21], v16, s19, v[7:8]
	v_sub_co_u32_e32 v11, vcc, v15, v11
	v_subb_co_u32_e32 v12, vcc, v18, v16, vcc
	s_branch .LBB31_43
.LBB31_46:
	v_add_u32_e32 v6, v15, v14
	s_movk_i32 s4, 0x1388
	v_mul_lo_u32 v6, v6, s4
	v_mov_b32_e32 v8, 1
	v_cmp_ne_u32_e32 vcc, 0, v6
	s_and_saveexec_b64 s[4:5], vcc
	s_cbranch_execz .LBB31_92
; %bb.47:
	v_mov_b32_e32 v8, 0
	v_mov_b32_e32 v7, v8
	;; [unrolled: 1-line block ×4, first 2 shown]
	s_mov_b64 s[8:9], 0xbc8f
	v_mov_b32_e32 v12, 0
	s_mov_b64 s[6:7], 0
	s_brev_b32 s17, -2
	v_mov_b32_e32 v9, v6
	s_branch .LBB31_49
.LBB31_48:                              ;   in Loop: Header=BB31_49 Depth=1
	s_or_b64 exec, exec, s[14:15]
	s_mul_i32 s9, s8, s9
	s_mul_hi_u32 s14, s8, s8
	s_add_i32 s14, s14, s9
	s_add_i32 s14, s14, s9
	s_mul_i32 s15, s8, s8
	s_mul_i32 s9, s14, 3
	s_mul_hi_u32 s18, s15, 3
	s_mul_hi_u32 s8, s14, 3
	s_add_u32 s9, s9, s18
	s_addc_u32 s8, s8, 0
	s_mul_i32 s19, s15, 0x80000001
	s_mul_hi_u32 s18, s15, 0x80000001
	s_add_u32 s9, s19, s9
	s_addc_u32 s9, s18, 0
	s_add_u32 s8, s8, s9
	s_addc_u32 s9, 0, 0
	s_mul_i32 s19, s14, 0x80000001
	s_mul_hi_u32 s18, s14, 0x80000001
	s_add_u32 s8, s19, s8
	s_addc_u32 s9, s18, s9
	s_lshr_b32 s18, s9, 30
	s_lshr_b64 s[8:9], s[8:9], 30
	s_mul_i32 s18, s18, 0x7fffffff
	s_mul_hi_u32 s9, s8, 0x7fffffff
	v_lshrrev_b64 v[15:16], 1, v[9:10]
	s_add_i32 s9, s9, s18
	s_mul_i32 s8, s8, 0x7fffffff
	s_sub_u32 s8, s15, s8
	v_cmp_gt_u64_e32 vcc, 2, v[9:10]
	s_subb_u32 s9, s14, s9
	v_mov_b32_e32 v9, v15
	s_or_b64 s[6:7], vcc, s[6:7]
	v_mov_b32_e32 v10, v16
	s_andn2_b64 exec, exec, s[6:7]
	s_cbranch_execz .LBB31_91
.LBB31_49:                              ; =>This Inner Loop Header: Depth=1
	v_and_b32_e32 v7, 1, v9
	v_cmp_eq_u32_e32 vcc, 1, v7
	s_and_saveexec_b64 s[14:15], vcc
	s_cbranch_execz .LBB31_48
; %bb.50:                               ;   in Loop: Header=BB31_49 Depth=1
	v_mad_u64_u32 v[15:16], s[18:19], s8, v11, 0
	v_mul_lo_u32 v11, s9, v11
	v_mul_lo_u32 v12, s8, v12
	v_mul_hi_u32 v7, v15, 5
	v_add3_u32 v18, v16, v12, v11
	v_mad_u64_u32 v[11:12], s[18:19], v18, 5, v[7:8]
	v_mov_b32_e32 v7, v11
	v_mad_u64_u32 v[16:17], s[18:19], v15, 2, v[7:8]
	v_add_co_u32_e32 v11, vcc, v12, v17
	v_addc_co_u32_e64 v12, s[18:19], 0, 0, vcc
	v_mad_u64_u32 v[11:12], s[18:19], v18, 2, v[11:12]
	v_sub_co_u32_e32 v16, vcc, v15, v11
	v_subb_co_u32_e32 v17, vcc, v18, v12, vcc
	v_lshrrev_b64 v[16:17], 1, v[16:17]
	v_add_co_u32_e32 v7, vcc, v16, v11
	v_addc_co_u32_e32 v16, vcc, v17, v12, vcc
	v_alignbit_b32 v7, v16, v7, 30
	v_mad_u64_u32 v[11:12], s[18:19], v7, s17, 0
	v_lshrrev_b32_e32 v16, 30, v16
	v_mov_b32_e32 v7, v12
	v_mad_u64_u32 v[16:17], s[18:19], v16, s17, v[7:8]
	v_sub_co_u32_e32 v11, vcc, v15, v11
	v_subb_co_u32_e32 v12, vcc, v18, v16, vcc
	s_branch .LBB31_48
.LBB31_51:
	v_add_u32_e32 v6, v15, v14
	s_movk_i32 s4, 0x1388
	v_mul_lo_u32 v6, v6, s4
	v_mov_b32_e32 v8, 1
	v_cmp_ne_u32_e32 vcc, 0, v6
	s_and_saveexec_b64 s[4:5], vcc
	s_cbranch_execz .LBB31_100
; %bb.52:
	v_mov_b32_e32 v8, 0
	v_mov_b32_e32 v7, v8
	;; [unrolled: 1-line block ×4, first 2 shown]
	s_mov_b64 s[8:9], 0xbc8f
	v_mov_b32_e32 v12, 0
	s_mov_b64 s[6:7], 0
	s_brev_b32 s17, -2
	v_mov_b32_e32 v9, v6
	s_branch .LBB31_54
.LBB31_53:                              ;   in Loop: Header=BB31_54 Depth=1
	s_or_b64 exec, exec, s[14:15]
	s_mul_i32 s9, s8, s9
	s_mul_hi_u32 s14, s8, s8
	s_add_i32 s14, s14, s9
	s_add_i32 s14, s14, s9
	s_mul_i32 s15, s8, s8
	s_mul_i32 s9, s14, 3
	s_mul_hi_u32 s18, s15, 3
	s_mul_hi_u32 s8, s14, 3
	s_add_u32 s9, s9, s18
	s_addc_u32 s8, s8, 0
	s_mul_i32 s19, s15, 0x80000001
	s_mul_hi_u32 s18, s15, 0x80000001
	s_add_u32 s9, s19, s9
	s_addc_u32 s9, s18, 0
	s_add_u32 s8, s8, s9
	s_addc_u32 s9, 0, 0
	s_mul_i32 s19, s14, 0x80000001
	s_mul_hi_u32 s18, s14, 0x80000001
	s_add_u32 s8, s19, s8
	s_addc_u32 s9, s18, s9
	s_lshr_b32 s18, s9, 30
	s_lshr_b64 s[8:9], s[8:9], 30
	s_mul_i32 s18, s18, 0x7fffffff
	s_mul_hi_u32 s9, s8, 0x7fffffff
	v_lshrrev_b64 v[15:16], 1, v[9:10]
	s_add_i32 s9, s9, s18
	s_mul_i32 s8, s8, 0x7fffffff
	s_sub_u32 s8, s15, s8
	v_cmp_gt_u64_e32 vcc, 2, v[9:10]
	s_subb_u32 s9, s14, s9
	v_mov_b32_e32 v9, v15
	s_or_b64 s[6:7], vcc, s[6:7]
	v_mov_b32_e32 v10, v16
	s_andn2_b64 exec, exec, s[6:7]
	s_cbranch_execz .LBB31_99
.LBB31_54:                              ; =>This Inner Loop Header: Depth=1
	v_and_b32_e32 v7, 1, v9
	v_cmp_eq_u32_e32 vcc, 1, v7
	s_and_saveexec_b64 s[14:15], vcc
	s_cbranch_execz .LBB31_53
; %bb.55:                               ;   in Loop: Header=BB31_54 Depth=1
	v_mad_u64_u32 v[15:16], s[18:19], s8, v11, 0
	v_mul_lo_u32 v11, s9, v11
	v_mul_lo_u32 v12, s8, v12
	v_mul_hi_u32 v7, v15, 5
	v_add3_u32 v18, v16, v12, v11
	v_mad_u64_u32 v[11:12], s[18:19], v18, 5, v[7:8]
	v_mov_b32_e32 v7, v11
	v_mad_u64_u32 v[16:17], s[18:19], v15, 2, v[7:8]
	v_add_co_u32_e32 v11, vcc, v12, v17
	v_addc_co_u32_e64 v12, s[18:19], 0, 0, vcc
	v_mad_u64_u32 v[11:12], s[18:19], v18, 2, v[11:12]
	v_sub_co_u32_e32 v16, vcc, v15, v11
	v_subb_co_u32_e32 v17, vcc, v18, v12, vcc
	v_lshrrev_b64 v[16:17], 1, v[16:17]
	v_add_co_u32_e32 v7, vcc, v16, v11
	v_addc_co_u32_e32 v16, vcc, v17, v12, vcc
	v_alignbit_b32 v7, v16, v7, 30
	v_mad_u64_u32 v[11:12], s[18:19], v7, s17, 0
	v_lshrrev_b32_e32 v16, 30, v16
	v_mov_b32_e32 v7, v12
	v_mad_u64_u32 v[16:17], s[18:19], v16, s17, v[7:8]
	v_sub_co_u32_e32 v11, vcc, v15, v11
	v_subb_co_u32_e32 v12, vcc, v18, v16, vcc
	s_branch .LBB31_53
.LBB31_56:
	v_add_u32_e32 v4, v13, v12
	s_movk_i32 s4, 0x1388
	v_mul_lo_u32 v4, v4, s4
	v_mov_b32_e32 v6, 1
	v_cmp_ne_u32_e32 vcc, 0, v4
	s_and_saveexec_b64 s[4:5], vcc
	s_cbranch_execz .LBB31_108
; %bb.57:
	v_mov_b32_e32 v6, 0
	v_mov_b32_e32 v5, v6
	;; [unrolled: 1-line block ×4, first 2 shown]
	s_mov_b64 s[8:9], 0xbc8f
	v_mov_b32_e32 v10, 0
	s_mov_b64 s[6:7], 0
	s_brev_b32 s17, -2
	v_mov_b32_e32 v7, v4
	s_branch .LBB31_59
.LBB31_58:                              ;   in Loop: Header=BB31_59 Depth=1
	s_or_b64 exec, exec, s[14:15]
	s_mul_i32 s9, s8, s9
	s_mul_hi_u32 s14, s8, s8
	s_add_i32 s14, s14, s9
	s_add_i32 s14, s14, s9
	s_mul_i32 s15, s8, s8
	s_mul_i32 s9, s14, 3
	s_mul_hi_u32 s18, s15, 3
	s_mul_hi_u32 s8, s14, 3
	s_add_u32 s9, s9, s18
	s_addc_u32 s8, s8, 0
	s_mul_i32 s19, s15, 0x80000001
	s_mul_hi_u32 s18, s15, 0x80000001
	s_add_u32 s9, s19, s9
	s_addc_u32 s9, s18, 0
	s_add_u32 s8, s8, s9
	s_addc_u32 s9, 0, 0
	s_mul_i32 s19, s14, 0x80000001
	s_mul_hi_u32 s18, s14, 0x80000001
	s_add_u32 s8, s19, s8
	s_addc_u32 s9, s18, s9
	s_lshr_b32 s18, s9, 30
	s_lshr_b64 s[8:9], s[8:9], 30
	s_mul_i32 s18, s18, 0x7fffffff
	s_mul_hi_u32 s9, s8, 0x7fffffff
	v_lshrrev_b64 v[13:14], 1, v[7:8]
	s_add_i32 s9, s9, s18
	s_mul_i32 s8, s8, 0x7fffffff
	s_sub_u32 s8, s15, s8
	v_cmp_gt_u64_e32 vcc, 2, v[7:8]
	s_subb_u32 s9, s14, s9
	v_mov_b32_e32 v7, v13
	s_or_b64 s[6:7], vcc, s[6:7]
	v_mov_b32_e32 v8, v14
	s_andn2_b64 exec, exec, s[6:7]
	s_cbranch_execz .LBB31_107
.LBB31_59:                              ; =>This Inner Loop Header: Depth=1
	v_and_b32_e32 v5, 1, v7
	v_cmp_eq_u32_e32 vcc, 1, v5
	s_and_saveexec_b64 s[14:15], vcc
	s_cbranch_execz .LBB31_58
; %bb.60:                               ;   in Loop: Header=BB31_59 Depth=1
	v_mad_u64_u32 v[13:14], s[18:19], s8, v9, 0
	v_mul_lo_u32 v9, s9, v9
	v_mul_lo_u32 v10, s8, v10
	v_mul_hi_u32 v5, v13, 5
	v_add3_u32 v16, v14, v10, v9
	v_mad_u64_u32 v[9:10], s[18:19], v16, 5, v[5:6]
	v_mov_b32_e32 v5, v9
	v_mad_u64_u32 v[14:15], s[18:19], v13, 2, v[5:6]
	v_add_co_u32_e32 v9, vcc, v10, v15
	v_addc_co_u32_e64 v10, s[18:19], 0, 0, vcc
	v_mad_u64_u32 v[9:10], s[18:19], v16, 2, v[9:10]
	v_sub_co_u32_e32 v14, vcc, v13, v9
	v_subb_co_u32_e32 v15, vcc, v16, v10, vcc
	v_lshrrev_b64 v[14:15], 1, v[14:15]
	v_add_co_u32_e32 v5, vcc, v14, v9
	v_addc_co_u32_e32 v14, vcc, v15, v10, vcc
	v_alignbit_b32 v5, v14, v5, 30
	v_mad_u64_u32 v[9:10], s[18:19], v5, s17, 0
	v_lshrrev_b32_e32 v14, 30, v14
	v_mov_b32_e32 v5, v10
	v_mad_u64_u32 v[14:15], s[18:19], v14, s17, v[5:6]
	v_sub_co_u32_e32 v9, vcc, v13, v9
	v_subb_co_u32_e32 v10, vcc, v16, v14, vcc
	s_branch .LBB31_58
.LBB31_61:
	s_or_b64 exec, exec, s[10:11]
	v_add_u32_e32 v6, 0x80000001, v10
	v_min_u32_e32 v6, v6, v10
	v_add_u32_e32 v7, 0x80000001, v6
	v_min_u32_e32 v8, v7, v6
.LBB31_62:
	s_or_b64 exec, exec, s[4:5]
	v_mov_b32_e32 v7, 0
	s_movk_i32 s10, 0x1388
	s_mov_b32 s11, 0xbc8f1391
	s_mov_b32 s14, 0xbc8f
	s_brev_b32 s15, 12
	s_mov_b32 s16, 0xf800000
	v_mov_b32_e32 v6, 0x260
.LBB31_63:                              ; =>This Inner Loop Header: Depth=1
	v_mul_hi_u32 v9, v8, s11
	v_add_f32_e32 v10, 1.0, v7
	s_add_i32 s10, s10, -2
	s_cmp_lg_u32 s10, 0
	v_lshrrev_b32_e32 v9, 15, v9
	v_mul_u32_u24_e32 v11, 0xadc8, v9
	v_sub_u32_e32 v8, v8, v11
	v_mul_lo_u32 v8, v8, s14
	v_mul_u32_u24_e32 v9, 0xd47, v9
	v_xor_b32_e32 v11, 0x7fffffff, v9
	v_sub_u32_e32 v14, 0, v9
	v_cmp_lt_u32_e32 vcc, v8, v9
	v_cndmask_b32_e32 v9, v14, v11, vcc
	v_add_u32_e32 v8, v9, v8
	v_mul_hi_u32 v11, v8, s11
	v_add_u32_e32 v9, -1, v8
	v_cvt_f32_u32_e32 v9, v9
	v_lshrrev_b32_e32 v11, 15, v11
	v_mul_u32_u24_e32 v14, 0xadc8, v11
	v_sub_u32_e32 v8, v8, v14
	v_mul_lo_u32 v8, v8, s14
	v_mul_u32_u24_e32 v11, 0xd47, v11
	v_xor_b32_e32 v14, 0x7fffffff, v11
	v_sub_u32_e32 v15, 0, v11
	v_cmp_lt_u32_e32 vcc, v8, v11
	v_cndmask_b32_e32 v11, v15, v14, vcc
	v_add_u32_e32 v8, v11, v8
	v_mul_hi_u32 v14, v8, s11
	v_add_u32_e32 v11, -1, v8
	v_cvt_f32_u32_e32 v11, v11
	v_fma_f32 v9, v9, s15, 0
	v_lshrrev_b32_e32 v14, 15, v14
	v_mul_u32_u24_e32 v15, 0xadc8, v14
	v_fma_f32 v11, v11, s15, 0
	v_sub_u32_e32 v8, v8, v15
	v_mul_f32_e32 v11, v11, v11
	v_mul_lo_u32 v8, v8, s14
	v_fmac_f32_e32 v11, v9, v9
	v_mul_f32_e32 v9, 0x4f800000, v11
	v_cmp_gt_f32_e32 vcc, s16, v11
	v_mul_u32_u24_e32 v14, 0xd47, v14
	v_cndmask_b32_e32 v9, v11, v9, vcc
	v_xor_b32_e32 v15, 0x7fffffff, v14
	v_sub_u32_e32 v16, 0, v14
	v_sqrt_f32_e32 v11, v9
	v_cmp_lt_u32_e64 s[4:5], v8, v14
	v_cndmask_b32_e64 v14, v16, v15, s[4:5]
	v_add_u32_e32 v8, v14, v8
	v_mul_hi_u32 v15, v8, s11
	v_add_u32_e32 v16, -1, v11
	v_add_u32_e32 v17, 1, v11
	v_fma_f32 v18, -v16, v11, v9
	v_fma_f32 v19, -v17, v11, v9
	v_cmp_ge_f32_e64 s[4:5], 0, v18
	v_cndmask_b32_e64 v11, v11, v16, s[4:5]
	v_cmp_lt_f32_e64 s[4:5], 0, v19
	v_lshrrev_b32_e32 v15, 15, v15
	v_cndmask_b32_e64 v11, v11, v17, s[4:5]
	v_mul_u32_u24_e32 v17, 0xadc8, v15
	v_add_u32_e32 v14, -1, v8
	v_sub_u32_e32 v8, v8, v17
	v_mul_f32_e32 v16, 0x37800000, v11
	v_mul_lo_u32 v8, v8, s14
	v_cndmask_b32_e32 v11, v11, v16, vcc
	v_cmp_class_f32_e32 vcc, v9, v6
	v_cndmask_b32_e32 v9, v11, v9, vcc
	v_mul_u32_u24_e32 v15, 0xd47, v15
	v_cmp_nge_f32_e32 vcc, 1.0, v9
	v_xor_b32_e32 v16, 0x7fffffff, v15
	v_sub_u32_e32 v17, 0, v15
	v_cndmask_b32_e32 v7, v10, v7, vcc
	v_cmp_lt_u32_e32 vcc, v8, v15
	v_cndmask_b32_e32 v10, v17, v16, vcc
	v_add_u32_e32 v8, v10, v8
	v_add_u32_e32 v10, -1, v8
	v_cvt_f32_u32_e32 v10, v10
	v_cvt_f32_u32_e32 v14, v14
	v_add_f32_e32 v9, 1.0, v7
	v_fma_f32 v10, v10, s15, 0
	v_fma_f32 v14, v14, s15, 0
	v_mul_f32_e32 v10, v10, v10
	v_fmac_f32_e32 v10, v14, v14
	v_mul_f32_e32 v11, 0x4f800000, v10
	v_cmp_gt_f32_e32 vcc, s16, v10
	v_cndmask_b32_e32 v10, v10, v11, vcc
	v_sqrt_f32_e32 v11, v10
	v_add_u32_e32 v14, -1, v11
	v_add_u32_e32 v15, 1, v11
	v_fma_f32 v16, -v14, v11, v10
	v_fma_f32 v17, -v15, v11, v10
	v_cmp_ge_f32_e64 s[4:5], 0, v16
	v_cndmask_b32_e64 v11, v11, v14, s[4:5]
	v_cmp_lt_f32_e64 s[4:5], 0, v17
	v_cndmask_b32_e64 v11, v11, v15, s[4:5]
	v_mul_f32_e32 v14, 0x37800000, v11
	v_cndmask_b32_e32 v11, v11, v14, vcc
	v_cmp_class_f32_e32 vcc, v10, v6
	v_cndmask_b32_e32 v10, v11, v10, vcc
	v_cmp_nge_f32_e32 vcc, 1.0, v10
	v_cndmask_b32_e32 v7, v9, v7, vcc
	s_cbranch_scc1 .LBB31_63
; %bb.64:
	v_mul_f32_e32 v7, 4.0, v7
	s_mov_b32 s10, 0x459c4000
	v_div_scale_f32 v6, s[4:5], s10, s10, v7
	v_div_scale_f32 v8, vcc, v7, s10, v7
	v_rcp_f32_e32 v9, v6
	v_fma_f32 v10, -v6, v9, 1.0
	v_fmac_f32_e32 v9, v10, v9
	v_mul_f32_e32 v10, v8, v9
	v_fma_f32 v11, -v6, v10, v8
	v_fmac_f32_e32 v10, v11, v9
	v_fma_f32 v6, -v6, v10, v8
	v_div_fmas_f32 v9, v6, v9, v10
	v_mbcnt_lo_u32_b32 v6, -1, 0
	v_mbcnt_hi_u32_b32 v6, -1, v6
	v_lshlrev_b32_e32 v8, 2, v6
	v_cmp_eq_u32_e32 vcc, 0, v6
	v_div_fixup_f32 v7, v9, s10, v7
	s_nop 1
	v_add_f32_dpp v7, v7, v7 quad_perm:[1,0,3,2] row_mask:0xf bank_mask:0xf bound_ctrl:1
	v_or_b32_e32 v9, 0xfc, v8
	s_nop 0
	v_add_f32_dpp v7, v7, v7 quad_perm:[2,3,0,1] row_mask:0xf bank_mask:0xf bound_ctrl:1
	s_nop 1
	v_add_f32_dpp v7, v7, v7 row_ror:4 row_mask:0xf bank_mask:0xf bound_ctrl:1
	s_nop 1
	v_add_f32_dpp v7, v7, v7 row_ror:8 row_mask:0xf bank_mask:0xf bound_ctrl:1
	s_nop 1
	v_add_f32_dpp v7, v7, v7 row_bcast:15 row_mask:0xf bank_mask:0xf bound_ctrl:1
	s_nop 1
	v_add_f32_dpp v7, v7, v7 row_bcast:31 row_mask:0xf bank_mask:0xf bound_ctrl:1
	ds_bpermute_b32 v7, v9, v7
	s_and_saveexec_b64 s[4:5], vcc
	s_cbranch_execz .LBB31_66
; %bb.65:
	v_lshrrev_b32_e32 v9, 4, v13
	v_and_b32_e32 v9, 60, v9
	s_waitcnt lgkmcnt(0)
	ds_write_b32 v9, v7 offset:16
.LBB31_66:
	s_or_b64 exec, exec, s[4:5]
	v_cmp_gt_u32_e32 vcc, 64, v13
	s_waitcnt lgkmcnt(0)
	s_barrier
	s_and_saveexec_b64 s[4:5], vcc
	s_cbranch_execz .LBB31_68
; %bb.67:
	v_and_b32_e32 v7, 3, v6
	v_lshlrev_b32_e32 v9, 2, v7
	ds_read_b32 v9, v9 offset:16
	v_cmp_ne_u32_e32 vcc, 3, v7
	v_addc_co_u32_e32 v6, vcc, 0, v6, vcc
	v_lshlrev_b32_e32 v6, 2, v6
	s_waitcnt lgkmcnt(0)
	ds_bpermute_b32 v6, v6, v9
	v_or_b32_e32 v7, 8, v8
	s_waitcnt lgkmcnt(0)
	v_add_f32_e32 v6, v9, v6
	ds_bpermute_b32 v7, v7, v6
	s_waitcnt lgkmcnt(0)
	v_add_f32_e32 v7, v6, v7
.LBB31_68:
	s_or_b64 exec, exec, s[4:5]
                                        ; implicit-def: $vgpr6
	s_andn2_saveexec_b64 s[8:9], s[8:9]
	s_cbranch_execz .LBB31_3
.LBB31_69:
	v_subrev_u32_e32 v14, s18, v2
	v_cmp_lt_u32_e32 vcc, v13, v14
                                        ; implicit-def: $vgpr7
	s_and_saveexec_b64 s[10:11], vcc
	s_cbranch_execz .LBB31_605
; %bb.70:
	v_add3_u32 v6, s18, v13, v6
	s_movk_i32 s4, 0x1388
	v_mul_lo_u32 v6, v6, s4
	v_mov_b32_e32 v8, 1
	v_cmp_ne_u32_e32 vcc, 0, v6
	s_and_saveexec_b64 s[4:5], vcc
	s_cbranch_execz .LBB31_602
; %bb.71:
	v_mov_b32_e32 v7, 0
	v_mov_b32_e32 v10, 1
	;; [unrolled: 1-line block ×3, first 2 shown]
	s_mov_b64 s[16:17], 0xbc8f
	v_mov_b32_e32 v11, 0
	s_mov_b64 s[14:15], 0
	s_brev_b32 s20, -2
	v_mov_b32_e32 v8, v6
	s_branch .LBB31_73
.LBB31_72:                              ;   in Loop: Header=BB31_73 Depth=1
	s_or_b64 exec, exec, s[18:19]
	s_mul_i32 s17, s16, s17
	s_mul_hi_u32 s18, s16, s16
	s_add_i32 s18, s18, s17
	s_add_i32 s18, s18, s17
	s_mul_i32 s19, s16, s16
	s_mul_i32 s17, s18, 3
	s_mul_hi_u32 s21, s19, 3
	s_mul_hi_u32 s16, s18, 3
	s_add_u32 s17, s17, s21
	s_addc_u32 s16, s16, 0
	s_mul_i32 s22, s19, 0x80000001
	s_mul_hi_u32 s21, s19, 0x80000001
	s_add_u32 s17, s22, s17
	s_addc_u32 s17, s21, 0
	s_add_u32 s16, s16, s17
	s_addc_u32 s17, 0, 0
	s_mul_i32 s22, s18, 0x80000001
	s_mul_hi_u32 s21, s18, 0x80000001
	s_add_u32 s16, s22, s16
	s_addc_u32 s17, s21, s17
	s_lshr_b32 s21, s17, 30
	s_lshr_b64 s[16:17], s[16:17], 30
	s_mul_i32 s21, s21, 0x7fffffff
	s_mul_hi_u32 s17, s16, 0x7fffffff
	v_lshrrev_b64 v[15:16], 1, v[8:9]
	s_add_i32 s17, s17, s21
	s_mul_i32 s16, s16, 0x7fffffff
	s_sub_u32 s16, s19, s16
	v_cmp_gt_u64_e32 vcc, 2, v[8:9]
	s_subb_u32 s17, s18, s17
	v_mov_b32_e32 v8, v15
	s_or_b64 s[14:15], vcc, s[14:15]
	v_mov_b32_e32 v9, v16
	s_andn2_b64 exec, exec, s[14:15]
	s_cbranch_execz .LBB31_601
.LBB31_73:                              ; =>This Inner Loop Header: Depth=1
	v_and_b32_e32 v6, 1, v8
	v_cmp_eq_u32_e32 vcc, 1, v6
	s_and_saveexec_b64 s[18:19], vcc
	s_cbranch_execz .LBB31_72
; %bb.74:                               ;   in Loop: Header=BB31_73 Depth=1
	v_mad_u64_u32 v[15:16], s[22:23], s16, v10, 0
	v_mul_lo_u32 v10, s17, v10
	v_mul_lo_u32 v11, s16, v11
	v_mul_hi_u32 v6, v15, 5
	v_add3_u32 v18, v16, v11, v10
	v_mad_u64_u32 v[10:11], s[22:23], v18, 5, v[6:7]
	v_mov_b32_e32 v6, v10
	v_mad_u64_u32 v[16:17], s[22:23], v15, 2, v[6:7]
	v_add_co_u32_e32 v10, vcc, v11, v17
	v_addc_co_u32_e64 v11, s[22:23], 0, 0, vcc
	v_mad_u64_u32 v[10:11], s[22:23], v18, 2, v[10:11]
	v_sub_co_u32_e32 v16, vcc, v15, v10
	v_subb_co_u32_e32 v17, vcc, v18, v11, vcc
	v_lshrrev_b64 v[16:17], 1, v[16:17]
	v_add_co_u32_e32 v6, vcc, v16, v10
	v_addc_co_u32_e32 v16, vcc, v17, v11, vcc
	v_alignbit_b32 v6, v16, v6, 30
	v_mad_u64_u32 v[10:11], s[22:23], v6, s20, 0
	v_lshrrev_b32_e32 v16, 30, v16
	v_mov_b32_e32 v6, v11
	v_mad_u64_u32 v[16:17], s[22:23], v16, s20, v[6:7]
	v_sub_co_u32_e32 v10, vcc, v15, v10
	v_subb_co_u32_e32 v11, vcc, v18, v16, vcc
	s_branch .LBB31_72
.LBB31_75:
	s_or_b64 exec, exec, s[10:11]
	v_add_u32_e32 v7, 0x80000001, v11
	v_min_u32_e32 v7, v7, v11
	v_add_u32_e32 v8, 0x80000001, v7
	v_min_u32_e32 v8, v8, v7
.LBB31_76:
	s_or_b64 exec, exec, s[4:5]
	v_mov_b32_e32 v12, 0
	s_movk_i32 s10, 0x1388
	s_mov_b32 s11, 0xbc8f1391
	s_mov_b32 s14, 0xbc8f
	s_brev_b32 s15, 12
	s_mov_b32 s16, 0xf800000
	v_mov_b32_e32 v7, 0x260
.LBB31_77:                              ; =>This Inner Loop Header: Depth=1
	v_mul_hi_u32 v9, v8, s11
	v_add_f32_e32 v10, 1.0, v12
	s_add_i32 s10, s10, -2
	s_cmp_lg_u32 s10, 0
	v_lshrrev_b32_e32 v9, 15, v9
	v_mul_u32_u24_e32 v11, 0xadc8, v9
	v_sub_u32_e32 v8, v8, v11
	v_mul_lo_u32 v8, v8, s14
	v_mul_u32_u24_e32 v9, 0xd47, v9
	v_xor_b32_e32 v11, 0x7fffffff, v9
	v_sub_u32_e32 v15, 0, v9
	v_cmp_lt_u32_e32 vcc, v8, v9
	v_cndmask_b32_e32 v9, v15, v11, vcc
	v_add_u32_e32 v8, v9, v8
	v_mul_hi_u32 v11, v8, s11
	v_add_u32_e32 v9, -1, v8
	v_cvt_f32_u32_e32 v9, v9
	v_lshrrev_b32_e32 v11, 15, v11
	v_mul_u32_u24_e32 v15, 0xadc8, v11
	v_sub_u32_e32 v8, v8, v15
	v_mul_lo_u32 v8, v8, s14
	v_mul_u32_u24_e32 v11, 0xd47, v11
	v_xor_b32_e32 v15, 0x7fffffff, v11
	v_sub_u32_e32 v16, 0, v11
	v_cmp_lt_u32_e32 vcc, v8, v11
	v_cndmask_b32_e32 v11, v16, v15, vcc
	v_add_u32_e32 v8, v11, v8
	v_mul_hi_u32 v15, v8, s11
	v_add_u32_e32 v11, -1, v8
	v_cvt_f32_u32_e32 v11, v11
	v_fma_f32 v9, v9, s15, 0
	v_lshrrev_b32_e32 v15, 15, v15
	v_mul_u32_u24_e32 v16, 0xadc8, v15
	v_fma_f32 v11, v11, s15, 0
	v_sub_u32_e32 v8, v8, v16
	v_mul_f32_e32 v11, v11, v11
	v_mul_lo_u32 v8, v8, s14
	v_fmac_f32_e32 v11, v9, v9
	v_mul_f32_e32 v9, 0x4f800000, v11
	v_cmp_gt_f32_e32 vcc, s16, v11
	v_mul_u32_u24_e32 v15, 0xd47, v15
	v_cndmask_b32_e32 v9, v11, v9, vcc
	v_xor_b32_e32 v16, 0x7fffffff, v15
	v_sub_u32_e32 v17, 0, v15
	v_sqrt_f32_e32 v11, v9
	v_cmp_lt_u32_e64 s[4:5], v8, v15
	v_cndmask_b32_e64 v15, v17, v16, s[4:5]
	v_add_u32_e32 v8, v15, v8
	v_mul_hi_u32 v16, v8, s11
	v_add_u32_e32 v17, -1, v11
	v_add_u32_e32 v18, 1, v11
	v_fma_f32 v19, -v17, v11, v9
	v_fma_f32 v20, -v18, v11, v9
	v_cmp_ge_f32_e64 s[4:5], 0, v19
	v_cndmask_b32_e64 v11, v11, v17, s[4:5]
	v_cmp_lt_f32_e64 s[4:5], 0, v20
	v_lshrrev_b32_e32 v16, 15, v16
	v_cndmask_b32_e64 v11, v11, v18, s[4:5]
	v_mul_u32_u24_e32 v18, 0xadc8, v16
	v_add_u32_e32 v15, -1, v8
	v_sub_u32_e32 v8, v8, v18
	v_mul_f32_e32 v17, 0x37800000, v11
	v_mul_lo_u32 v8, v8, s14
	v_cndmask_b32_e32 v11, v11, v17, vcc
	v_cmp_class_f32_e32 vcc, v9, v7
	v_cndmask_b32_e32 v9, v11, v9, vcc
	v_mul_u32_u24_e32 v16, 0xd47, v16
	v_cmp_nge_f32_e32 vcc, 1.0, v9
	v_xor_b32_e32 v17, 0x7fffffff, v16
	v_sub_u32_e32 v18, 0, v16
	v_cndmask_b32_e32 v9, v10, v12, vcc
	v_cmp_lt_u32_e32 vcc, v8, v16
	v_cndmask_b32_e32 v11, v18, v17, vcc
	v_add_u32_e32 v8, v11, v8
	v_add_u32_e32 v11, -1, v8
	v_cvt_f32_u32_e32 v11, v11
	v_cvt_f32_u32_e32 v15, v15
	v_add_f32_e32 v10, 1.0, v9
	v_fma_f32 v11, v11, s15, 0
	v_fma_f32 v15, v15, s15, 0
	v_mul_f32_e32 v11, v11, v11
	v_fmac_f32_e32 v11, v15, v15
	v_mul_f32_e32 v12, 0x4f800000, v11
	v_cmp_gt_f32_e32 vcc, s16, v11
	v_cndmask_b32_e32 v11, v11, v12, vcc
	v_sqrt_f32_e32 v12, v11
	v_add_u32_e32 v15, -1, v12
	v_add_u32_e32 v16, 1, v12
	v_fma_f32 v17, -v15, v12, v11
	v_fma_f32 v18, -v16, v12, v11
	v_cmp_ge_f32_e64 s[4:5], 0, v17
	v_cndmask_b32_e64 v12, v12, v15, s[4:5]
	v_cmp_lt_f32_e64 s[4:5], 0, v18
	v_cndmask_b32_e64 v12, v12, v16, s[4:5]
	v_mul_f32_e32 v15, 0x37800000, v12
	v_cndmask_b32_e32 v12, v12, v15, vcc
	v_cmp_class_f32_e32 vcc, v11, v7
	v_cndmask_b32_e32 v11, v12, v11, vcc
	v_cmp_nge_f32_e32 vcc, 1.0, v11
	v_cndmask_b32_e32 v12, v10, v9, vcc
	s_cbranch_scc1 .LBB31_77
; %bb.78:
	v_add_u32_e32 v6, 0x138800, v6
	v_cmp_ne_u32_e32 vcc, 0, v6
	v_mov_b32_e32 v8, 1
	s_and_saveexec_b64 s[4:5], vcc
	s_cbranch_execz .LBB31_116
; %bb.79:
	v_mov_b32_e32 v7, 0
	v_mov_b32_e32 v10, 1
	;; [unrolled: 1-line block ×3, first 2 shown]
	s_mov_b64 s[14:15], 0xbc8f
	v_mov_b32_e32 v11, 0
	s_mov_b64 s[10:11], 0
	s_brev_b32 s19, -2
	v_mov_b32_e32 v8, v6
	s_branch .LBB31_81
.LBB31_80:                              ;   in Loop: Header=BB31_81 Depth=1
	s_or_b64 exec, exec, s[16:17]
	s_mul_i32 s15, s14, s15
	s_mul_hi_u32 s16, s14, s14
	s_add_i32 s16, s16, s15
	s_add_i32 s16, s16, s15
	s_mul_i32 s17, s14, s14
	s_mul_i32 s15, s16, 3
	s_mul_hi_u32 s20, s17, 3
	s_mul_hi_u32 s14, s16, 3
	s_add_u32 s15, s15, s20
	s_addc_u32 s14, s14, 0
	s_mul_i32 s21, s17, 0x80000001
	s_mul_hi_u32 s20, s17, 0x80000001
	s_add_u32 s15, s21, s15
	s_addc_u32 s15, s20, 0
	s_add_u32 s14, s14, s15
	s_addc_u32 s15, 0, 0
	s_mul_i32 s21, s16, 0x80000001
	s_mul_hi_u32 s20, s16, 0x80000001
	s_add_u32 s14, s21, s14
	s_addc_u32 s15, s20, s15
	s_lshr_b32 s20, s15, 30
	s_lshr_b64 s[14:15], s[14:15], 30
	s_mul_i32 s20, s20, 0x7fffffff
	s_mul_hi_u32 s15, s14, 0x7fffffff
	v_lshrrev_b64 v[15:16], 1, v[8:9]
	s_add_i32 s15, s15, s20
	s_mul_i32 s14, s14, 0x7fffffff
	s_sub_u32 s14, s17, s14
	v_cmp_gt_u64_e32 vcc, 2, v[8:9]
	s_subb_u32 s15, s16, s15
	v_mov_b32_e32 v8, v15
	s_or_b64 s[10:11], vcc, s[10:11]
	v_mov_b32_e32 v9, v16
	s_andn2_b64 exec, exec, s[10:11]
	s_cbranch_execz .LBB31_115
.LBB31_81:                              ; =>This Inner Loop Header: Depth=1
	v_and_b32_e32 v6, 1, v8
	v_cmp_eq_u32_e32 vcc, 1, v6
	s_and_saveexec_b64 s[16:17], vcc
	s_cbranch_execz .LBB31_80
; %bb.82:                               ;   in Loop: Header=BB31_81 Depth=1
	v_mad_u64_u32 v[15:16], s[20:21], s14, v10, 0
	v_mul_lo_u32 v10, s15, v10
	v_mul_lo_u32 v11, s14, v11
	v_mul_hi_u32 v6, v15, 5
	v_add3_u32 v18, v16, v11, v10
	v_mad_u64_u32 v[10:11], s[20:21], v18, 5, v[6:7]
	v_mov_b32_e32 v6, v10
	v_mad_u64_u32 v[16:17], s[20:21], v15, 2, v[6:7]
	v_add_co_u32_e32 v10, vcc, v11, v17
	v_addc_co_u32_e64 v11, s[20:21], 0, 0, vcc
	v_mad_u64_u32 v[10:11], s[20:21], v18, 2, v[10:11]
	v_sub_co_u32_e32 v16, vcc, v15, v10
	v_subb_co_u32_e32 v17, vcc, v18, v11, vcc
	v_lshrrev_b64 v[16:17], 1, v[16:17]
	v_add_co_u32_e32 v6, vcc, v16, v10
	v_addc_co_u32_e32 v16, vcc, v17, v11, vcc
	v_alignbit_b32 v6, v16, v6, 30
	v_mad_u64_u32 v[10:11], s[20:21], v6, s19, 0
	v_lshrrev_b32_e32 v16, 30, v16
	v_mov_b32_e32 v6, v11
	v_mad_u64_u32 v[16:17], s[20:21], v16, s19, v[6:7]
	v_sub_co_u32_e32 v10, vcc, v15, v10
	v_subb_co_u32_e32 v11, vcc, v18, v16, vcc
	s_branch .LBB31_80
.LBB31_83:
	s_or_b64 exec, exec, s[6:7]
	v_add_u32_e32 v7, 0x80000001, v11
	v_min_u32_e32 v7, v7, v11
	v_add_u32_e32 v8, 0x80000001, v7
	v_min_u32_e32 v8, v8, v7
.LBB31_84:
	s_or_b64 exec, exec, s[4:5]
	v_mov_b32_e32 v15, 0
	s_movk_i32 s6, 0x1388
	s_mov_b32 s7, 0xbc8f1391
	s_mov_b32 s8, 0xbc8f
	s_brev_b32 s9, 12
	s_mov_b32 s16, 0xf800000
	v_mov_b32_e32 v7, 0x260
.LBB31_85:                              ; =>This Inner Loop Header: Depth=1
	v_mul_hi_u32 v9, v8, s7
	v_add_f32_e32 v10, 1.0, v15
	s_add_i32 s6, s6, -2
	s_cmp_lg_u32 s6, 0
	v_lshrrev_b32_e32 v9, 15, v9
	v_mul_u32_u24_e32 v11, 0xadc8, v9
	v_sub_u32_e32 v8, v8, v11
	v_mul_lo_u32 v8, v8, s8
	v_mul_u32_u24_e32 v9, 0xd47, v9
	v_xor_b32_e32 v11, 0x7fffffff, v9
	v_sub_u32_e32 v12, 0, v9
	v_cmp_lt_u32_e32 vcc, v8, v9
	v_cndmask_b32_e32 v9, v12, v11, vcc
	v_add_u32_e32 v8, v9, v8
	v_mul_hi_u32 v11, v8, s7
	v_add_u32_e32 v9, -1, v8
	v_cvt_f32_u32_e32 v9, v9
	v_lshrrev_b32_e32 v11, 15, v11
	v_mul_u32_u24_e32 v12, 0xadc8, v11
	v_sub_u32_e32 v8, v8, v12
	v_mul_lo_u32 v8, v8, s8
	v_mul_u32_u24_e32 v11, 0xd47, v11
	v_xor_b32_e32 v12, 0x7fffffff, v11
	v_sub_u32_e32 v16, 0, v11
	v_cmp_lt_u32_e32 vcc, v8, v11
	v_cndmask_b32_e32 v11, v16, v12, vcc
	v_add_u32_e32 v8, v11, v8
	v_mul_hi_u32 v12, v8, s7
	v_add_u32_e32 v11, -1, v8
	v_cvt_f32_u32_e32 v11, v11
	v_fma_f32 v9, v9, s9, 0
	v_lshrrev_b32_e32 v12, 15, v12
	v_mul_u32_u24_e32 v16, 0xadc8, v12
	v_fma_f32 v11, v11, s9, 0
	v_sub_u32_e32 v8, v8, v16
	v_mul_f32_e32 v11, v11, v11
	v_mul_lo_u32 v8, v8, s8
	v_fmac_f32_e32 v11, v9, v9
	v_mul_f32_e32 v9, 0x4f800000, v11
	v_cmp_gt_f32_e32 vcc, s16, v11
	v_mul_u32_u24_e32 v12, 0xd47, v12
	v_cndmask_b32_e32 v9, v11, v9, vcc
	v_xor_b32_e32 v16, 0x7fffffff, v12
	v_sub_u32_e32 v17, 0, v12
	v_sqrt_f32_e32 v11, v9
	v_cmp_lt_u32_e64 s[4:5], v8, v12
	v_cndmask_b32_e64 v12, v17, v16, s[4:5]
	v_add_u32_e32 v8, v12, v8
	v_mul_hi_u32 v16, v8, s7
	v_add_u32_e32 v17, -1, v11
	v_add_u32_e32 v18, 1, v11
	v_fma_f32 v19, -v17, v11, v9
	v_fma_f32 v20, -v18, v11, v9
	v_cmp_ge_f32_e64 s[4:5], 0, v19
	v_cndmask_b32_e64 v11, v11, v17, s[4:5]
	v_cmp_lt_f32_e64 s[4:5], 0, v20
	v_lshrrev_b32_e32 v16, 15, v16
	v_cndmask_b32_e64 v11, v11, v18, s[4:5]
	v_mul_u32_u24_e32 v18, 0xadc8, v16
	v_add_u32_e32 v12, -1, v8
	v_sub_u32_e32 v8, v8, v18
	v_mul_f32_e32 v17, 0x37800000, v11
	v_mul_lo_u32 v8, v8, s8
	v_cndmask_b32_e32 v11, v11, v17, vcc
	v_cmp_class_f32_e32 vcc, v9, v7
	v_cndmask_b32_e32 v9, v11, v9, vcc
	v_mul_u32_u24_e32 v16, 0xd47, v16
	v_cmp_nge_f32_e32 vcc, 1.0, v9
	v_xor_b32_e32 v17, 0x7fffffff, v16
	v_sub_u32_e32 v18, 0, v16
	v_cndmask_b32_e32 v9, v10, v15, vcc
	v_cmp_lt_u32_e32 vcc, v8, v16
	v_cndmask_b32_e32 v11, v18, v17, vcc
	v_add_u32_e32 v8, v11, v8
	v_add_u32_e32 v11, -1, v8
	v_cvt_f32_u32_e32 v11, v11
	v_cvt_f32_u32_e32 v12, v12
	v_add_f32_e32 v10, 1.0, v9
	v_fma_f32 v11, v11, s9, 0
	v_fma_f32 v12, v12, s9, 0
	v_mul_f32_e32 v11, v11, v11
	v_fmac_f32_e32 v11, v12, v12
	v_mul_f32_e32 v12, 0x4f800000, v11
	v_cmp_gt_f32_e32 vcc, s16, v11
	v_cndmask_b32_e32 v11, v11, v12, vcc
	v_sqrt_f32_e32 v12, v11
	v_add_u32_e32 v15, -1, v12
	v_add_u32_e32 v16, 1, v12
	v_fma_f32 v17, -v15, v12, v11
	v_fma_f32 v18, -v16, v12, v11
	v_cmp_ge_f32_e64 s[4:5], 0, v17
	v_cndmask_b32_e64 v12, v12, v15, s[4:5]
	v_cmp_lt_f32_e64 s[4:5], 0, v18
	v_cndmask_b32_e64 v12, v12, v16, s[4:5]
	v_mul_f32_e32 v15, 0x37800000, v12
	v_cndmask_b32_e32 v12, v12, v15, vcc
	v_cmp_class_f32_e32 vcc, v11, v7
	v_cndmask_b32_e32 v11, v12, v11, vcc
	v_cmp_nge_f32_e32 vcc, 1.0, v11
	v_cndmask_b32_e32 v15, v10, v9, vcc
	s_cbranch_scc1 .LBB31_85
; %bb.86:
	v_add_u32_e32 v7, 0x138800, v6
	v_cmp_ne_u32_e32 vcc, 0, v7
	v_mov_b32_e32 v8, 1
	s_and_saveexec_b64 s[4:5], vcc
	s_cbranch_execz .LBB31_130
; %bb.87:
	v_mov_b32_e32 v8, 0
	v_mov_b32_e32 v11, 1
	v_mov_b32_e32 v10, v8
	s_mov_b64 s[8:9], 0xbc8f
	v_mov_b32_e32 v12, 0
	s_mov_b64 s[6:7], 0
	s_brev_b32 s19, -2
	v_mov_b32_e32 v9, v7
	s_branch .LBB31_89
.LBB31_88:                              ;   in Loop: Header=BB31_89 Depth=1
	s_or_b64 exec, exec, s[16:17]
	s_mul_i32 s9, s8, s9
	s_mul_hi_u32 s16, s8, s8
	s_add_i32 s16, s16, s9
	s_add_i32 s16, s16, s9
	s_mul_i32 s17, s8, s8
	s_mul_i32 s9, s16, 3
	s_mul_hi_u32 s20, s17, 3
	s_mul_hi_u32 s8, s16, 3
	s_add_u32 s9, s9, s20
	s_addc_u32 s8, s8, 0
	s_mul_i32 s21, s17, 0x80000001
	s_mul_hi_u32 s20, s17, 0x80000001
	s_add_u32 s9, s21, s9
	s_addc_u32 s9, s20, 0
	s_add_u32 s8, s8, s9
	s_addc_u32 s9, 0, 0
	s_mul_i32 s21, s16, 0x80000001
	s_mul_hi_u32 s20, s16, 0x80000001
	s_add_u32 s8, s21, s8
	s_addc_u32 s9, s20, s9
	s_lshr_b32 s20, s9, 30
	s_lshr_b64 s[8:9], s[8:9], 30
	s_mul_i32 s20, s20, 0x7fffffff
	s_mul_hi_u32 s9, s8, 0x7fffffff
	v_lshrrev_b64 v[16:17], 1, v[9:10]
	s_add_i32 s9, s9, s20
	s_mul_i32 s8, s8, 0x7fffffff
	s_sub_u32 s8, s17, s8
	v_cmp_gt_u64_e32 vcc, 2, v[9:10]
	s_subb_u32 s9, s16, s9
	v_mov_b32_e32 v9, v16
	s_or_b64 s[6:7], vcc, s[6:7]
	v_mov_b32_e32 v10, v17
	s_andn2_b64 exec, exec, s[6:7]
	s_cbranch_execz .LBB31_129
.LBB31_89:                              ; =>This Inner Loop Header: Depth=1
	v_and_b32_e32 v7, 1, v9
	v_cmp_eq_u32_e32 vcc, 1, v7
	s_and_saveexec_b64 s[16:17], vcc
	s_cbranch_execz .LBB31_88
; %bb.90:                               ;   in Loop: Header=BB31_89 Depth=1
	v_mad_u64_u32 v[16:17], s[20:21], s8, v11, 0
	v_mul_lo_u32 v11, s9, v11
	v_mul_lo_u32 v12, s8, v12
	v_mul_hi_u32 v7, v16, 5
	v_add3_u32 v19, v17, v12, v11
	v_mad_u64_u32 v[11:12], s[20:21], v19, 5, v[7:8]
	v_mov_b32_e32 v7, v11
	v_mad_u64_u32 v[17:18], s[20:21], v16, 2, v[7:8]
	v_add_co_u32_e32 v11, vcc, v12, v18
	v_addc_co_u32_e64 v12, s[20:21], 0, 0, vcc
	v_mad_u64_u32 v[11:12], s[20:21], v19, 2, v[11:12]
	v_sub_co_u32_e32 v17, vcc, v16, v11
	v_subb_co_u32_e32 v18, vcc, v19, v12, vcc
	v_lshrrev_b64 v[17:18], 1, v[17:18]
	v_add_co_u32_e32 v7, vcc, v17, v11
	v_addc_co_u32_e32 v17, vcc, v18, v12, vcc
	v_alignbit_b32 v7, v17, v7, 30
	v_mad_u64_u32 v[11:12], s[20:21], v7, s19, 0
	v_lshrrev_b32_e32 v17, 30, v17
	v_mov_b32_e32 v7, v12
	v_mad_u64_u32 v[17:18], s[20:21], v17, s19, v[7:8]
	v_sub_co_u32_e32 v11, vcc, v16, v11
	v_subb_co_u32_e32 v12, vcc, v19, v17, vcc
	s_branch .LBB31_88
.LBB31_91:
	s_or_b64 exec, exec, s[6:7]
	v_add_u32_e32 v7, 0x80000001, v11
	v_min_u32_e32 v7, v7, v11
	v_add_u32_e32 v8, 0x80000001, v7
	v_min_u32_e32 v8, v8, v7
.LBB31_92:
	s_or_b64 exec, exec, s[4:5]
	v_mov_b32_e32 v15, 0
	s_movk_i32 s6, 0x1388
	s_mov_b32 s7, 0xbc8f1391
	s_mov_b32 s8, 0xbc8f
	s_brev_b32 s9, 12
	s_mov_b32 s14, 0xf800000
	v_mov_b32_e32 v7, 0x260
.LBB31_93:                              ; =>This Inner Loop Header: Depth=1
	v_mul_hi_u32 v9, v8, s7
	v_add_f32_e32 v10, 1.0, v15
	s_add_i32 s6, s6, -2
	s_cmp_lg_u32 s6, 0
	v_lshrrev_b32_e32 v9, 15, v9
	v_mul_u32_u24_e32 v11, 0xadc8, v9
	v_sub_u32_e32 v8, v8, v11
	v_mul_lo_u32 v8, v8, s8
	v_mul_u32_u24_e32 v9, 0xd47, v9
	v_xor_b32_e32 v11, 0x7fffffff, v9
	v_sub_u32_e32 v12, 0, v9
	v_cmp_lt_u32_e32 vcc, v8, v9
	v_cndmask_b32_e32 v9, v12, v11, vcc
	v_add_u32_e32 v8, v9, v8
	v_mul_hi_u32 v11, v8, s7
	v_add_u32_e32 v9, -1, v8
	v_cvt_f32_u32_e32 v9, v9
	v_lshrrev_b32_e32 v11, 15, v11
	v_mul_u32_u24_e32 v12, 0xadc8, v11
	v_sub_u32_e32 v8, v8, v12
	v_mul_lo_u32 v8, v8, s8
	v_mul_u32_u24_e32 v11, 0xd47, v11
	v_xor_b32_e32 v12, 0x7fffffff, v11
	v_sub_u32_e32 v16, 0, v11
	v_cmp_lt_u32_e32 vcc, v8, v11
	v_cndmask_b32_e32 v11, v16, v12, vcc
	v_add_u32_e32 v8, v11, v8
	v_mul_hi_u32 v12, v8, s7
	v_add_u32_e32 v11, -1, v8
	v_cvt_f32_u32_e32 v11, v11
	v_fma_f32 v9, v9, s9, 0
	v_lshrrev_b32_e32 v12, 15, v12
	v_mul_u32_u24_e32 v16, 0xadc8, v12
	v_fma_f32 v11, v11, s9, 0
	v_sub_u32_e32 v8, v8, v16
	v_mul_f32_e32 v11, v11, v11
	v_mul_lo_u32 v8, v8, s8
	v_fmac_f32_e32 v11, v9, v9
	v_mul_f32_e32 v9, 0x4f800000, v11
	v_cmp_gt_f32_e32 vcc, s14, v11
	v_mul_u32_u24_e32 v12, 0xd47, v12
	v_cndmask_b32_e32 v9, v11, v9, vcc
	v_xor_b32_e32 v16, 0x7fffffff, v12
	v_sub_u32_e32 v17, 0, v12
	v_sqrt_f32_e32 v11, v9
	v_cmp_lt_u32_e64 s[4:5], v8, v12
	v_cndmask_b32_e64 v12, v17, v16, s[4:5]
	v_add_u32_e32 v8, v12, v8
	v_mul_hi_u32 v16, v8, s7
	v_add_u32_e32 v17, -1, v11
	v_add_u32_e32 v18, 1, v11
	v_fma_f32 v19, -v17, v11, v9
	v_fma_f32 v20, -v18, v11, v9
	v_cmp_ge_f32_e64 s[4:5], 0, v19
	v_cndmask_b32_e64 v11, v11, v17, s[4:5]
	v_cmp_lt_f32_e64 s[4:5], 0, v20
	v_lshrrev_b32_e32 v16, 15, v16
	v_cndmask_b32_e64 v11, v11, v18, s[4:5]
	v_mul_u32_u24_e32 v18, 0xadc8, v16
	v_add_u32_e32 v12, -1, v8
	v_sub_u32_e32 v8, v8, v18
	v_mul_f32_e32 v17, 0x37800000, v11
	v_mul_lo_u32 v8, v8, s8
	v_cndmask_b32_e32 v11, v11, v17, vcc
	v_cmp_class_f32_e32 vcc, v9, v7
	v_cndmask_b32_e32 v9, v11, v9, vcc
	v_mul_u32_u24_e32 v16, 0xd47, v16
	v_cmp_nge_f32_e32 vcc, 1.0, v9
	v_xor_b32_e32 v17, 0x7fffffff, v16
	v_sub_u32_e32 v18, 0, v16
	v_cndmask_b32_e32 v9, v10, v15, vcc
	v_cmp_lt_u32_e32 vcc, v8, v16
	v_cndmask_b32_e32 v11, v18, v17, vcc
	v_add_u32_e32 v8, v11, v8
	v_add_u32_e32 v11, -1, v8
	v_cvt_f32_u32_e32 v11, v11
	v_cvt_f32_u32_e32 v12, v12
	v_add_f32_e32 v10, 1.0, v9
	v_fma_f32 v11, v11, s9, 0
	v_fma_f32 v12, v12, s9, 0
	v_mul_f32_e32 v11, v11, v11
	v_fmac_f32_e32 v11, v12, v12
	v_mul_f32_e32 v12, 0x4f800000, v11
	v_cmp_gt_f32_e32 vcc, s14, v11
	v_cndmask_b32_e32 v11, v11, v12, vcc
	v_sqrt_f32_e32 v12, v11
	v_add_u32_e32 v15, -1, v12
	v_add_u32_e32 v16, 1, v12
	v_fma_f32 v17, -v15, v12, v11
	v_fma_f32 v18, -v16, v12, v11
	v_cmp_ge_f32_e64 s[4:5], 0, v17
	v_cndmask_b32_e64 v12, v12, v15, s[4:5]
	v_cmp_lt_f32_e64 s[4:5], 0, v18
	v_cndmask_b32_e64 v12, v12, v16, s[4:5]
	v_mul_f32_e32 v15, 0x37800000, v12
	v_cndmask_b32_e32 v12, v12, v15, vcc
	v_cmp_class_f32_e32 vcc, v11, v7
	v_cndmask_b32_e32 v11, v12, v11, vcc
	v_cmp_nge_f32_e32 vcc, 1.0, v11
	v_cndmask_b32_e32 v15, v10, v9, vcc
	s_cbranch_scc1 .LBB31_93
; %bb.94:
	v_add_u32_e32 v7, 0x138800, v6
	v_cmp_ne_u32_e32 vcc, 0, v7
	v_mov_b32_e32 v8, 1
	s_and_saveexec_b64 s[4:5], vcc
	s_cbranch_execz .LBB31_138
; %bb.95:
	v_mov_b32_e32 v8, 0
	v_mov_b32_e32 v11, 1
	;; [unrolled: 1-line block ×3, first 2 shown]
	s_mov_b64 s[8:9], 0xbc8f
	v_mov_b32_e32 v12, 0
	s_mov_b64 s[6:7], 0
	s_brev_b32 s17, -2
	v_mov_b32_e32 v9, v7
	s_branch .LBB31_97
.LBB31_96:                              ;   in Loop: Header=BB31_97 Depth=1
	s_or_b64 exec, exec, s[14:15]
	s_mul_i32 s9, s8, s9
	s_mul_hi_u32 s14, s8, s8
	s_add_i32 s14, s14, s9
	s_add_i32 s14, s14, s9
	s_mul_i32 s15, s8, s8
	s_mul_i32 s9, s14, 3
	s_mul_hi_u32 s18, s15, 3
	s_mul_hi_u32 s8, s14, 3
	s_add_u32 s9, s9, s18
	s_addc_u32 s8, s8, 0
	s_mul_i32 s19, s15, 0x80000001
	s_mul_hi_u32 s18, s15, 0x80000001
	s_add_u32 s9, s19, s9
	s_addc_u32 s9, s18, 0
	s_add_u32 s8, s8, s9
	s_addc_u32 s9, 0, 0
	s_mul_i32 s19, s14, 0x80000001
	s_mul_hi_u32 s18, s14, 0x80000001
	s_add_u32 s8, s19, s8
	s_addc_u32 s9, s18, s9
	s_lshr_b32 s18, s9, 30
	s_lshr_b64 s[8:9], s[8:9], 30
	s_mul_i32 s18, s18, 0x7fffffff
	s_mul_hi_u32 s9, s8, 0x7fffffff
	v_lshrrev_b64 v[16:17], 1, v[9:10]
	s_add_i32 s9, s9, s18
	s_mul_i32 s8, s8, 0x7fffffff
	s_sub_u32 s8, s15, s8
	v_cmp_gt_u64_e32 vcc, 2, v[9:10]
	s_subb_u32 s9, s14, s9
	v_mov_b32_e32 v9, v16
	s_or_b64 s[6:7], vcc, s[6:7]
	v_mov_b32_e32 v10, v17
	s_andn2_b64 exec, exec, s[6:7]
	s_cbranch_execz .LBB31_137
.LBB31_97:                              ; =>This Inner Loop Header: Depth=1
	v_and_b32_e32 v7, 1, v9
	v_cmp_eq_u32_e32 vcc, 1, v7
	s_and_saveexec_b64 s[14:15], vcc
	s_cbranch_execz .LBB31_96
; %bb.98:                               ;   in Loop: Header=BB31_97 Depth=1
	v_mad_u64_u32 v[16:17], s[18:19], s8, v11, 0
	v_mul_lo_u32 v11, s9, v11
	v_mul_lo_u32 v12, s8, v12
	v_mul_hi_u32 v7, v16, 5
	v_add3_u32 v19, v17, v12, v11
	v_mad_u64_u32 v[11:12], s[18:19], v19, 5, v[7:8]
	v_mov_b32_e32 v7, v11
	v_mad_u64_u32 v[17:18], s[18:19], v16, 2, v[7:8]
	v_add_co_u32_e32 v11, vcc, v12, v18
	v_addc_co_u32_e64 v12, s[18:19], 0, 0, vcc
	v_mad_u64_u32 v[11:12], s[18:19], v19, 2, v[11:12]
	v_sub_co_u32_e32 v17, vcc, v16, v11
	v_subb_co_u32_e32 v18, vcc, v19, v12, vcc
	v_lshrrev_b64 v[17:18], 1, v[17:18]
	v_add_co_u32_e32 v7, vcc, v17, v11
	v_addc_co_u32_e32 v17, vcc, v18, v12, vcc
	v_alignbit_b32 v7, v17, v7, 30
	v_mad_u64_u32 v[11:12], s[18:19], v7, s17, 0
	v_lshrrev_b32_e32 v17, 30, v17
	v_mov_b32_e32 v7, v12
	v_mad_u64_u32 v[17:18], s[18:19], v17, s17, v[7:8]
	v_sub_co_u32_e32 v11, vcc, v16, v11
	v_subb_co_u32_e32 v12, vcc, v19, v17, vcc
	s_branch .LBB31_96
.LBB31_99:
	s_or_b64 exec, exec, s[6:7]
	v_add_u32_e32 v7, 0x80000001, v11
	v_min_u32_e32 v7, v7, v11
	v_add_u32_e32 v8, 0x80000001, v7
	v_min_u32_e32 v8, v8, v7
.LBB31_100:
	s_or_b64 exec, exec, s[4:5]
	v_mov_b32_e32 v15, 0
	s_movk_i32 s6, 0x1388
	s_mov_b32 s7, 0xbc8f1391
	s_mov_b32 s8, 0xbc8f
	s_brev_b32 s9, 12
	s_mov_b32 s14, 0xf800000
	v_mov_b32_e32 v7, 0x260
.LBB31_101:                             ; =>This Inner Loop Header: Depth=1
	v_mul_hi_u32 v9, v8, s7
	v_add_f32_e32 v10, 1.0, v15
	s_add_i32 s6, s6, -2
	s_cmp_lg_u32 s6, 0
	v_lshrrev_b32_e32 v9, 15, v9
	v_mul_u32_u24_e32 v11, 0xadc8, v9
	v_sub_u32_e32 v8, v8, v11
	v_mul_lo_u32 v8, v8, s8
	v_mul_u32_u24_e32 v9, 0xd47, v9
	v_xor_b32_e32 v11, 0x7fffffff, v9
	v_sub_u32_e32 v12, 0, v9
	v_cmp_lt_u32_e32 vcc, v8, v9
	v_cndmask_b32_e32 v9, v12, v11, vcc
	v_add_u32_e32 v8, v9, v8
	v_mul_hi_u32 v11, v8, s7
	v_add_u32_e32 v9, -1, v8
	v_cvt_f32_u32_e32 v9, v9
	v_lshrrev_b32_e32 v11, 15, v11
	v_mul_u32_u24_e32 v12, 0xadc8, v11
	v_sub_u32_e32 v8, v8, v12
	v_mul_lo_u32 v8, v8, s8
	v_mul_u32_u24_e32 v11, 0xd47, v11
	v_xor_b32_e32 v12, 0x7fffffff, v11
	v_sub_u32_e32 v16, 0, v11
	v_cmp_lt_u32_e32 vcc, v8, v11
	v_cndmask_b32_e32 v11, v16, v12, vcc
	v_add_u32_e32 v8, v11, v8
	v_mul_hi_u32 v12, v8, s7
	v_add_u32_e32 v11, -1, v8
	v_cvt_f32_u32_e32 v11, v11
	v_fma_f32 v9, v9, s9, 0
	v_lshrrev_b32_e32 v12, 15, v12
	v_mul_u32_u24_e32 v16, 0xadc8, v12
	v_fma_f32 v11, v11, s9, 0
	v_sub_u32_e32 v8, v8, v16
	v_mul_f32_e32 v11, v11, v11
	v_mul_lo_u32 v8, v8, s8
	v_fmac_f32_e32 v11, v9, v9
	v_mul_f32_e32 v9, 0x4f800000, v11
	v_cmp_gt_f32_e32 vcc, s14, v11
	v_mul_u32_u24_e32 v12, 0xd47, v12
	v_cndmask_b32_e32 v9, v11, v9, vcc
	v_xor_b32_e32 v16, 0x7fffffff, v12
	v_sub_u32_e32 v17, 0, v12
	v_sqrt_f32_e32 v11, v9
	v_cmp_lt_u32_e64 s[4:5], v8, v12
	v_cndmask_b32_e64 v12, v17, v16, s[4:5]
	v_add_u32_e32 v8, v12, v8
	v_mul_hi_u32 v16, v8, s7
	v_add_u32_e32 v17, -1, v11
	v_add_u32_e32 v18, 1, v11
	v_fma_f32 v19, -v17, v11, v9
	v_fma_f32 v20, -v18, v11, v9
	v_cmp_ge_f32_e64 s[4:5], 0, v19
	v_cndmask_b32_e64 v11, v11, v17, s[4:5]
	v_cmp_lt_f32_e64 s[4:5], 0, v20
	v_lshrrev_b32_e32 v16, 15, v16
	v_cndmask_b32_e64 v11, v11, v18, s[4:5]
	v_mul_u32_u24_e32 v18, 0xadc8, v16
	v_add_u32_e32 v12, -1, v8
	v_sub_u32_e32 v8, v8, v18
	v_mul_f32_e32 v17, 0x37800000, v11
	v_mul_lo_u32 v8, v8, s8
	v_cndmask_b32_e32 v11, v11, v17, vcc
	v_cmp_class_f32_e32 vcc, v9, v7
	v_cndmask_b32_e32 v9, v11, v9, vcc
	v_mul_u32_u24_e32 v16, 0xd47, v16
	v_cmp_nge_f32_e32 vcc, 1.0, v9
	v_xor_b32_e32 v17, 0x7fffffff, v16
	v_sub_u32_e32 v18, 0, v16
	v_cndmask_b32_e32 v9, v10, v15, vcc
	v_cmp_lt_u32_e32 vcc, v8, v16
	v_cndmask_b32_e32 v11, v18, v17, vcc
	v_add_u32_e32 v8, v11, v8
	v_add_u32_e32 v11, -1, v8
	v_cvt_f32_u32_e32 v11, v11
	v_cvt_f32_u32_e32 v12, v12
	v_add_f32_e32 v10, 1.0, v9
	v_fma_f32 v11, v11, s9, 0
	v_fma_f32 v12, v12, s9, 0
	v_mul_f32_e32 v11, v11, v11
	v_fmac_f32_e32 v11, v12, v12
	v_mul_f32_e32 v12, 0x4f800000, v11
	v_cmp_gt_f32_e32 vcc, s14, v11
	v_cndmask_b32_e32 v11, v11, v12, vcc
	v_sqrt_f32_e32 v12, v11
	v_add_u32_e32 v15, -1, v12
	v_add_u32_e32 v16, 1, v12
	v_fma_f32 v17, -v15, v12, v11
	v_fma_f32 v18, -v16, v12, v11
	v_cmp_ge_f32_e64 s[4:5], 0, v17
	v_cndmask_b32_e64 v12, v12, v15, s[4:5]
	v_cmp_lt_f32_e64 s[4:5], 0, v18
	v_cndmask_b32_e64 v12, v12, v16, s[4:5]
	v_mul_f32_e32 v15, 0x37800000, v12
	v_cndmask_b32_e32 v12, v12, v15, vcc
	v_cmp_class_f32_e32 vcc, v11, v7
	v_cndmask_b32_e32 v11, v12, v11, vcc
	v_cmp_nge_f32_e32 vcc, 1.0, v11
	v_cndmask_b32_e32 v15, v10, v9, vcc
	s_cbranch_scc1 .LBB31_101
; %bb.102:
	v_add_u32_e32 v7, 0x138800, v6
	v_cmp_ne_u32_e32 vcc, 0, v7
	v_mov_b32_e32 v8, 1
	s_and_saveexec_b64 s[4:5], vcc
	s_cbranch_execz .LBB31_146
; %bb.103:
	v_mov_b32_e32 v8, 0
	v_mov_b32_e32 v11, 1
	;; [unrolled: 1-line block ×3, first 2 shown]
	s_mov_b64 s[8:9], 0xbc8f
	v_mov_b32_e32 v12, 0
	s_mov_b64 s[6:7], 0
	s_brev_b32 s17, -2
	v_mov_b32_e32 v9, v7
	s_branch .LBB31_105
.LBB31_104:                             ;   in Loop: Header=BB31_105 Depth=1
	s_or_b64 exec, exec, s[14:15]
	s_mul_i32 s9, s8, s9
	s_mul_hi_u32 s14, s8, s8
	s_add_i32 s14, s14, s9
	s_add_i32 s14, s14, s9
	s_mul_i32 s15, s8, s8
	s_mul_i32 s9, s14, 3
	s_mul_hi_u32 s18, s15, 3
	s_mul_hi_u32 s8, s14, 3
	s_add_u32 s9, s9, s18
	s_addc_u32 s8, s8, 0
	s_mul_i32 s19, s15, 0x80000001
	s_mul_hi_u32 s18, s15, 0x80000001
	s_add_u32 s9, s19, s9
	s_addc_u32 s9, s18, 0
	s_add_u32 s8, s8, s9
	s_addc_u32 s9, 0, 0
	s_mul_i32 s19, s14, 0x80000001
	s_mul_hi_u32 s18, s14, 0x80000001
	s_add_u32 s8, s19, s8
	s_addc_u32 s9, s18, s9
	s_lshr_b32 s18, s9, 30
	s_lshr_b64 s[8:9], s[8:9], 30
	s_mul_i32 s18, s18, 0x7fffffff
	s_mul_hi_u32 s9, s8, 0x7fffffff
	v_lshrrev_b64 v[16:17], 1, v[9:10]
	s_add_i32 s9, s9, s18
	s_mul_i32 s8, s8, 0x7fffffff
	s_sub_u32 s8, s15, s8
	v_cmp_gt_u64_e32 vcc, 2, v[9:10]
	s_subb_u32 s9, s14, s9
	v_mov_b32_e32 v9, v16
	s_or_b64 s[6:7], vcc, s[6:7]
	v_mov_b32_e32 v10, v17
	s_andn2_b64 exec, exec, s[6:7]
	s_cbranch_execz .LBB31_145
.LBB31_105:                             ; =>This Inner Loop Header: Depth=1
	v_and_b32_e32 v7, 1, v9
	v_cmp_eq_u32_e32 vcc, 1, v7
	s_and_saveexec_b64 s[14:15], vcc
	s_cbranch_execz .LBB31_104
; %bb.106:                              ;   in Loop: Header=BB31_105 Depth=1
	v_mad_u64_u32 v[16:17], s[18:19], s8, v11, 0
	v_mul_lo_u32 v11, s9, v11
	v_mul_lo_u32 v12, s8, v12
	v_mul_hi_u32 v7, v16, 5
	v_add3_u32 v19, v17, v12, v11
	v_mad_u64_u32 v[11:12], s[18:19], v19, 5, v[7:8]
	v_mov_b32_e32 v7, v11
	v_mad_u64_u32 v[17:18], s[18:19], v16, 2, v[7:8]
	v_add_co_u32_e32 v11, vcc, v12, v18
	v_addc_co_u32_e64 v12, s[18:19], 0, 0, vcc
	v_mad_u64_u32 v[11:12], s[18:19], v19, 2, v[11:12]
	v_sub_co_u32_e32 v17, vcc, v16, v11
	v_subb_co_u32_e32 v18, vcc, v19, v12, vcc
	v_lshrrev_b64 v[17:18], 1, v[17:18]
	v_add_co_u32_e32 v7, vcc, v17, v11
	v_addc_co_u32_e32 v17, vcc, v18, v12, vcc
	v_alignbit_b32 v7, v17, v7, 30
	v_mad_u64_u32 v[11:12], s[18:19], v7, s17, 0
	v_lshrrev_b32_e32 v17, 30, v17
	v_mov_b32_e32 v7, v12
	v_mad_u64_u32 v[17:18], s[18:19], v17, s17, v[7:8]
	v_sub_co_u32_e32 v11, vcc, v16, v11
	v_subb_co_u32_e32 v12, vcc, v19, v17, vcc
	s_branch .LBB31_104
.LBB31_107:
	s_or_b64 exec, exec, s[6:7]
	v_add_u32_e32 v5, 0x80000001, v9
	v_min_u32_e32 v5, v5, v9
	v_add_u32_e32 v6, 0x80000001, v5
	v_min_u32_e32 v6, v6, v5
.LBB31_108:
	s_or_b64 exec, exec, s[4:5]
	v_mov_b32_e32 v13, 0
	s_movk_i32 s6, 0x1388
	s_mov_b32 s7, 0xbc8f1391
	s_mov_b32 s8, 0xbc8f
	s_brev_b32 s9, 12
	s_mov_b32 s14, 0xf800000
	v_mov_b32_e32 v5, 0x260
.LBB31_109:                             ; =>This Inner Loop Header: Depth=1
	v_mul_hi_u32 v7, v6, s7
	v_add_f32_e32 v8, 1.0, v13
	s_add_i32 s6, s6, -2
	s_cmp_lg_u32 s6, 0
	v_lshrrev_b32_e32 v7, 15, v7
	v_mul_u32_u24_e32 v9, 0xadc8, v7
	v_sub_u32_e32 v6, v6, v9
	v_mul_lo_u32 v6, v6, s8
	v_mul_u32_u24_e32 v7, 0xd47, v7
	v_xor_b32_e32 v9, 0x7fffffff, v7
	v_sub_u32_e32 v10, 0, v7
	v_cmp_lt_u32_e32 vcc, v6, v7
	v_cndmask_b32_e32 v7, v10, v9, vcc
	v_add_u32_e32 v6, v7, v6
	v_mul_hi_u32 v9, v6, s7
	v_add_u32_e32 v7, -1, v6
	v_cvt_f32_u32_e32 v7, v7
	v_lshrrev_b32_e32 v9, 15, v9
	v_mul_u32_u24_e32 v10, 0xadc8, v9
	v_sub_u32_e32 v6, v6, v10
	v_mul_lo_u32 v6, v6, s8
	v_mul_u32_u24_e32 v9, 0xd47, v9
	v_xor_b32_e32 v10, 0x7fffffff, v9
	v_sub_u32_e32 v14, 0, v9
	v_cmp_lt_u32_e32 vcc, v6, v9
	v_cndmask_b32_e32 v9, v14, v10, vcc
	v_add_u32_e32 v6, v9, v6
	v_mul_hi_u32 v10, v6, s7
	v_add_u32_e32 v9, -1, v6
	v_cvt_f32_u32_e32 v9, v9
	v_fma_f32 v7, v7, s9, 0
	v_lshrrev_b32_e32 v10, 15, v10
	v_mul_u32_u24_e32 v14, 0xadc8, v10
	v_fma_f32 v9, v9, s9, 0
	v_sub_u32_e32 v6, v6, v14
	v_mul_f32_e32 v9, v9, v9
	v_mul_lo_u32 v6, v6, s8
	v_fmac_f32_e32 v9, v7, v7
	v_mul_f32_e32 v7, 0x4f800000, v9
	v_cmp_gt_f32_e32 vcc, s14, v9
	v_mul_u32_u24_e32 v10, 0xd47, v10
	v_cndmask_b32_e32 v7, v9, v7, vcc
	v_xor_b32_e32 v14, 0x7fffffff, v10
	v_sub_u32_e32 v15, 0, v10
	v_sqrt_f32_e32 v9, v7
	v_cmp_lt_u32_e64 s[4:5], v6, v10
	v_cndmask_b32_e64 v10, v15, v14, s[4:5]
	v_add_u32_e32 v6, v10, v6
	v_mul_hi_u32 v14, v6, s7
	v_add_u32_e32 v15, -1, v9
	v_add_u32_e32 v16, 1, v9
	v_fma_f32 v17, -v15, v9, v7
	v_fma_f32 v18, -v16, v9, v7
	v_cmp_ge_f32_e64 s[4:5], 0, v17
	v_cndmask_b32_e64 v9, v9, v15, s[4:5]
	v_cmp_lt_f32_e64 s[4:5], 0, v18
	v_lshrrev_b32_e32 v14, 15, v14
	v_cndmask_b32_e64 v9, v9, v16, s[4:5]
	v_mul_u32_u24_e32 v16, 0xadc8, v14
	v_add_u32_e32 v10, -1, v6
	v_sub_u32_e32 v6, v6, v16
	v_mul_f32_e32 v15, 0x37800000, v9
	v_mul_lo_u32 v6, v6, s8
	v_cndmask_b32_e32 v9, v9, v15, vcc
	v_cmp_class_f32_e32 vcc, v7, v5
	v_cndmask_b32_e32 v7, v9, v7, vcc
	v_mul_u32_u24_e32 v14, 0xd47, v14
	v_cmp_nge_f32_e32 vcc, 1.0, v7
	v_xor_b32_e32 v15, 0x7fffffff, v14
	v_sub_u32_e32 v16, 0, v14
	v_cndmask_b32_e32 v7, v8, v13, vcc
	v_cmp_lt_u32_e32 vcc, v6, v14
	v_cndmask_b32_e32 v9, v16, v15, vcc
	v_add_u32_e32 v6, v9, v6
	v_add_u32_e32 v9, -1, v6
	v_cvt_f32_u32_e32 v9, v9
	v_cvt_f32_u32_e32 v10, v10
	v_add_f32_e32 v8, 1.0, v7
	v_fma_f32 v9, v9, s9, 0
	v_fma_f32 v10, v10, s9, 0
	v_mul_f32_e32 v9, v9, v9
	v_fmac_f32_e32 v9, v10, v10
	v_mul_f32_e32 v10, 0x4f800000, v9
	v_cmp_gt_f32_e32 vcc, s14, v9
	v_cndmask_b32_e32 v9, v9, v10, vcc
	v_sqrt_f32_e32 v10, v9
	v_add_u32_e32 v13, -1, v10
	v_add_u32_e32 v14, 1, v10
	v_fma_f32 v15, -v13, v10, v9
	v_fma_f32 v16, -v14, v10, v9
	v_cmp_ge_f32_e64 s[4:5], 0, v15
	v_cndmask_b32_e64 v10, v10, v13, s[4:5]
	v_cmp_lt_f32_e64 s[4:5], 0, v16
	v_cndmask_b32_e64 v10, v10, v14, s[4:5]
	v_mul_f32_e32 v13, 0x37800000, v10
	v_cndmask_b32_e32 v10, v10, v13, vcc
	v_cmp_class_f32_e32 vcc, v9, v5
	v_cndmask_b32_e32 v9, v10, v9, vcc
	v_cmp_nge_f32_e32 vcc, 1.0, v9
	v_cndmask_b32_e32 v13, v8, v7, vcc
	s_cbranch_scc1 .LBB31_109
; %bb.110:
	v_add_u32_e32 v5, 0x138800, v4
	v_cmp_ne_u32_e32 vcc, 0, v5
	v_mov_b32_e32 v6, 1
	s_and_saveexec_b64 s[4:5], vcc
	s_cbranch_execz .LBB31_154
; %bb.111:
	v_mov_b32_e32 v6, 0
	v_mov_b32_e32 v9, 1
	;; [unrolled: 1-line block ×3, first 2 shown]
	s_mov_b64 s[8:9], 0xbc8f
	v_mov_b32_e32 v10, 0
	s_mov_b64 s[6:7], 0
	s_brev_b32 s17, -2
	v_mov_b32_e32 v7, v5
	s_branch .LBB31_113
.LBB31_112:                             ;   in Loop: Header=BB31_113 Depth=1
	s_or_b64 exec, exec, s[14:15]
	s_mul_i32 s9, s8, s9
	s_mul_hi_u32 s14, s8, s8
	s_add_i32 s14, s14, s9
	s_add_i32 s14, s14, s9
	s_mul_i32 s15, s8, s8
	s_mul_i32 s9, s14, 3
	s_mul_hi_u32 s18, s15, 3
	s_mul_hi_u32 s8, s14, 3
	s_add_u32 s9, s9, s18
	s_addc_u32 s8, s8, 0
	s_mul_i32 s19, s15, 0x80000001
	s_mul_hi_u32 s18, s15, 0x80000001
	s_add_u32 s9, s19, s9
	s_addc_u32 s9, s18, 0
	s_add_u32 s8, s8, s9
	s_addc_u32 s9, 0, 0
	s_mul_i32 s19, s14, 0x80000001
	s_mul_hi_u32 s18, s14, 0x80000001
	s_add_u32 s8, s19, s8
	s_addc_u32 s9, s18, s9
	s_lshr_b32 s18, s9, 30
	s_lshr_b64 s[8:9], s[8:9], 30
	s_mul_i32 s18, s18, 0x7fffffff
	s_mul_hi_u32 s9, s8, 0x7fffffff
	v_lshrrev_b64 v[14:15], 1, v[7:8]
	s_add_i32 s9, s9, s18
	s_mul_i32 s8, s8, 0x7fffffff
	s_sub_u32 s8, s15, s8
	v_cmp_gt_u64_e32 vcc, 2, v[7:8]
	s_subb_u32 s9, s14, s9
	v_mov_b32_e32 v7, v14
	s_or_b64 s[6:7], vcc, s[6:7]
	v_mov_b32_e32 v8, v15
	s_andn2_b64 exec, exec, s[6:7]
	s_cbranch_execz .LBB31_153
.LBB31_113:                             ; =>This Inner Loop Header: Depth=1
	v_and_b32_e32 v5, 1, v7
	v_cmp_eq_u32_e32 vcc, 1, v5
	s_and_saveexec_b64 s[14:15], vcc
	s_cbranch_execz .LBB31_112
; %bb.114:                              ;   in Loop: Header=BB31_113 Depth=1
	v_mad_u64_u32 v[14:15], s[18:19], s8, v9, 0
	v_mul_lo_u32 v9, s9, v9
	v_mul_lo_u32 v10, s8, v10
	v_mul_hi_u32 v5, v14, 5
	v_add3_u32 v17, v15, v10, v9
	v_mad_u64_u32 v[9:10], s[18:19], v17, 5, v[5:6]
	v_mov_b32_e32 v5, v9
	v_mad_u64_u32 v[15:16], s[18:19], v14, 2, v[5:6]
	v_add_co_u32_e32 v9, vcc, v10, v16
	v_addc_co_u32_e64 v10, s[18:19], 0, 0, vcc
	v_mad_u64_u32 v[9:10], s[18:19], v17, 2, v[9:10]
	v_sub_co_u32_e32 v15, vcc, v14, v9
	v_subb_co_u32_e32 v16, vcc, v17, v10, vcc
	v_lshrrev_b64 v[15:16], 1, v[15:16]
	v_add_co_u32_e32 v5, vcc, v15, v9
	v_addc_co_u32_e32 v15, vcc, v16, v10, vcc
	v_alignbit_b32 v5, v15, v5, 30
	v_mad_u64_u32 v[9:10], s[18:19], v5, s17, 0
	v_lshrrev_b32_e32 v15, 30, v15
	v_mov_b32_e32 v5, v10
	v_mad_u64_u32 v[15:16], s[18:19], v15, s17, v[5:6]
	v_sub_co_u32_e32 v9, vcc, v14, v9
	v_subb_co_u32_e32 v10, vcc, v17, v15, vcc
	s_branch .LBB31_112
.LBB31_115:
	s_or_b64 exec, exec, s[10:11]
	v_add_u32_e32 v6, 0x80000001, v10
	v_min_u32_e32 v6, v6, v10
	v_add_u32_e32 v7, 0x80000001, v6
	v_min_u32_e32 v8, v7, v6
.LBB31_116:
	s_or_b64 exec, exec, s[4:5]
	v_mov_b32_e32 v7, 0
	s_movk_i32 s10, 0x1388
	s_mov_b32 s11, 0xbc8f1391
	s_mov_b32 s14, 0xbc8f
	s_brev_b32 s15, 12
	s_mov_b32 s16, 0xf800000
	v_mov_b32_e32 v6, 0x260
.LBB31_117:                             ; =>This Inner Loop Header: Depth=1
	v_mul_hi_u32 v9, v8, s11
	v_add_f32_e32 v10, 1.0, v7
	s_add_i32 s10, s10, -2
	s_cmp_lg_u32 s10, 0
	v_lshrrev_b32_e32 v9, 15, v9
	v_mul_u32_u24_e32 v11, 0xadc8, v9
	v_sub_u32_e32 v8, v8, v11
	v_mul_lo_u32 v8, v8, s14
	v_mul_u32_u24_e32 v9, 0xd47, v9
	v_xor_b32_e32 v11, 0x7fffffff, v9
	v_sub_u32_e32 v15, 0, v9
	v_cmp_lt_u32_e32 vcc, v8, v9
	v_cndmask_b32_e32 v9, v15, v11, vcc
	v_add_u32_e32 v8, v9, v8
	v_mul_hi_u32 v11, v8, s11
	v_add_u32_e32 v9, -1, v8
	v_cvt_f32_u32_e32 v9, v9
	v_lshrrev_b32_e32 v11, 15, v11
	v_mul_u32_u24_e32 v15, 0xadc8, v11
	v_sub_u32_e32 v8, v8, v15
	v_mul_lo_u32 v8, v8, s14
	v_mul_u32_u24_e32 v11, 0xd47, v11
	v_xor_b32_e32 v15, 0x7fffffff, v11
	v_sub_u32_e32 v16, 0, v11
	v_cmp_lt_u32_e32 vcc, v8, v11
	v_cndmask_b32_e32 v11, v16, v15, vcc
	v_add_u32_e32 v8, v11, v8
	v_mul_hi_u32 v15, v8, s11
	v_add_u32_e32 v11, -1, v8
	v_cvt_f32_u32_e32 v11, v11
	v_fma_f32 v9, v9, s15, 0
	v_lshrrev_b32_e32 v15, 15, v15
	v_mul_u32_u24_e32 v16, 0xadc8, v15
	v_fma_f32 v11, v11, s15, 0
	v_sub_u32_e32 v8, v8, v16
	v_mul_f32_e32 v11, v11, v11
	v_mul_lo_u32 v8, v8, s14
	v_fmac_f32_e32 v11, v9, v9
	v_mul_f32_e32 v9, 0x4f800000, v11
	v_cmp_gt_f32_e32 vcc, s16, v11
	v_mul_u32_u24_e32 v15, 0xd47, v15
	v_cndmask_b32_e32 v9, v11, v9, vcc
	v_xor_b32_e32 v16, 0x7fffffff, v15
	v_sub_u32_e32 v17, 0, v15
	v_sqrt_f32_e32 v11, v9
	v_cmp_lt_u32_e64 s[4:5], v8, v15
	v_cndmask_b32_e64 v15, v17, v16, s[4:5]
	v_add_u32_e32 v8, v15, v8
	v_mul_hi_u32 v16, v8, s11
	v_add_u32_e32 v17, -1, v11
	v_add_u32_e32 v18, 1, v11
	v_fma_f32 v19, -v17, v11, v9
	v_fma_f32 v20, -v18, v11, v9
	v_cmp_ge_f32_e64 s[4:5], 0, v19
	v_cndmask_b32_e64 v11, v11, v17, s[4:5]
	v_cmp_lt_f32_e64 s[4:5], 0, v20
	v_lshrrev_b32_e32 v16, 15, v16
	v_cndmask_b32_e64 v11, v11, v18, s[4:5]
	v_mul_u32_u24_e32 v18, 0xadc8, v16
	v_add_u32_e32 v15, -1, v8
	v_sub_u32_e32 v8, v8, v18
	v_mul_f32_e32 v17, 0x37800000, v11
	v_mul_lo_u32 v8, v8, s14
	v_cndmask_b32_e32 v11, v11, v17, vcc
	v_cmp_class_f32_e32 vcc, v9, v6
	v_cndmask_b32_e32 v9, v11, v9, vcc
	v_mul_u32_u24_e32 v16, 0xd47, v16
	v_cmp_nge_f32_e32 vcc, 1.0, v9
	v_xor_b32_e32 v17, 0x7fffffff, v16
	v_sub_u32_e32 v18, 0, v16
	v_cndmask_b32_e32 v7, v10, v7, vcc
	v_cmp_lt_u32_e32 vcc, v8, v16
	v_cndmask_b32_e32 v10, v18, v17, vcc
	v_add_u32_e32 v8, v10, v8
	v_add_u32_e32 v10, -1, v8
	v_cvt_f32_u32_e32 v10, v10
	v_cvt_f32_u32_e32 v15, v15
	v_add_f32_e32 v9, 1.0, v7
	v_fma_f32 v10, v10, s15, 0
	v_fma_f32 v15, v15, s15, 0
	v_mul_f32_e32 v10, v10, v10
	v_fmac_f32_e32 v10, v15, v15
	v_mul_f32_e32 v11, 0x4f800000, v10
	v_cmp_gt_f32_e32 vcc, s16, v10
	v_cndmask_b32_e32 v10, v10, v11, vcc
	v_sqrt_f32_e32 v11, v10
	v_add_u32_e32 v15, -1, v11
	v_add_u32_e32 v16, 1, v11
	v_fma_f32 v17, -v15, v11, v10
	v_fma_f32 v18, -v16, v11, v10
	v_cmp_ge_f32_e64 s[4:5], 0, v17
	v_cndmask_b32_e64 v11, v11, v15, s[4:5]
	v_cmp_lt_f32_e64 s[4:5], 0, v18
	v_cndmask_b32_e64 v11, v11, v16, s[4:5]
	v_mul_f32_e32 v15, 0x37800000, v11
	v_cndmask_b32_e32 v11, v11, v15, vcc
	v_cmp_class_f32_e32 vcc, v10, v6
	v_cndmask_b32_e32 v10, v11, v10, vcc
	v_cmp_nge_f32_e32 vcc, 1.0, v10
	v_cndmask_b32_e32 v7, v9, v7, vcc
	s_cbranch_scc1 .LBB31_117
; %bb.118:
	v_mul_f32_e32 v9, 4.0, v12
	s_mov_b32 s10, 0x459c4000
	v_div_scale_f32 v6, s[4:5], s10, s10, v9
	v_mul_f32_e32 v7, 4.0, v7
	v_div_scale_f32 v8, s[4:5], s10, s10, v7
	v_div_scale_f32 v10, vcc, v9, s10, v9
	v_div_scale_f32 v11, s[4:5], v7, s10, v7
	v_rcp_f32_e32 v12, v6
	v_rcp_f32_e32 v15, v8
	v_fma_f32 v16, -v6, v12, 1.0
	v_fmac_f32_e32 v12, v16, v12
	v_mul_f32_e32 v16, v10, v12
	v_fma_f32 v17, -v8, v15, 1.0
	v_fmac_f32_e32 v15, v17, v15
	v_mul_f32_e32 v17, v11, v15
	v_fma_f32 v18, -v6, v16, v10
	v_fma_f32 v19, -v8, v17, v11
	v_fmac_f32_e32 v16, v18, v12
	v_fmac_f32_e32 v17, v19, v15
	v_fma_f32 v6, -v6, v16, v10
	v_fma_f32 v8, -v8, v17, v11
	v_div_fmas_f32 v10, v6, v12, v16
	s_mov_b64 vcc, s[4:5]
	v_div_fmas_f32 v11, v8, v15, v17
	v_mbcnt_lo_u32_b32 v6, -1, 0
	v_mbcnt_hi_u32_b32 v6, -1, v6
	v_lshlrev_b32_e32 v8, 2, v6
	v_cmp_eq_u32_e32 vcc, 0, v6
	v_div_fixup_f32 v9, v10, s10, v9
	v_div_fixup_f32 v7, v11, s10, v7
	v_add_f32_e32 v7, v9, v7
	v_or_b32_e32 v9, 0xfc, v8
	s_nop 0
	v_add_f32_dpp v7, v7, v7 quad_perm:[1,0,3,2] row_mask:0xf bank_mask:0xf bound_ctrl:1
	s_nop 1
	v_add_f32_dpp v7, v7, v7 quad_perm:[2,3,0,1] row_mask:0xf bank_mask:0xf bound_ctrl:1
	s_nop 1
	v_add_f32_dpp v7, v7, v7 row_ror:4 row_mask:0xf bank_mask:0xf bound_ctrl:1
	s_nop 1
	v_add_f32_dpp v7, v7, v7 row_ror:8 row_mask:0xf bank_mask:0xf bound_ctrl:1
	s_nop 1
	v_add_f32_dpp v7, v7, v7 row_bcast:15 row_mask:0xf bank_mask:0xf bound_ctrl:1
	s_nop 1
	v_add_f32_dpp v7, v7, v7 row_bcast:31 row_mask:0xf bank_mask:0xf bound_ctrl:1
	ds_bpermute_b32 v7, v9, v7
	s_and_saveexec_b64 s[4:5], vcc
	s_cbranch_execz .LBB31_120
; %bb.119:
	v_lshrrev_b32_e32 v9, 4, v14
	v_and_b32_e32 v9, 60, v9
	s_waitcnt lgkmcnt(0)
	ds_write_b32 v9, v7 offset:32
.LBB31_120:
	s_or_b64 exec, exec, s[4:5]
	v_cmp_gt_u32_e32 vcc, 64, v14
	s_waitcnt lgkmcnt(0)
	s_barrier
	s_and_saveexec_b64 s[4:5], vcc
	s_cbranch_execz .LBB31_122
; %bb.121:
	v_and_b32_e32 v7, 3, v6
	v_lshlrev_b32_e32 v9, 2, v7
	ds_read_b32 v9, v9 offset:32
	v_cmp_ne_u32_e32 vcc, 3, v7
	v_addc_co_u32_e32 v6, vcc, 0, v6, vcc
	v_lshlrev_b32_e32 v6, 2, v6
	s_waitcnt lgkmcnt(0)
	ds_bpermute_b32 v6, v6, v9
	v_or_b32_e32 v7, 8, v8
	s_waitcnt lgkmcnt(0)
	v_add_f32_e32 v6, v9, v6
	ds_bpermute_b32 v7, v7, v6
	s_waitcnt lgkmcnt(0)
	v_add_f32_e32 v7, v6, v7
.LBB31_122:
	s_or_b64 exec, exec, s[4:5]
                                        ; implicit-def: $vgpr15
	s_andn2_saveexec_b64 s[10:11], s[6:7]
	s_cbranch_execz .LBB31_8
.LBB31_123:
	v_subrev_u32_e32 v12, s18, v2
	v_mov_b32_e32 v16, 0
	v_cmp_lt_u32_e32 vcc, v14, v12
	v_mov_b32_e32 v6, v16
	s_and_saveexec_b64 s[6:7], vcc
	s_cbranch_execz .LBB31_614
; %bb.124:
	v_add_u32_e32 v6, v15, v14
	s_movk_i32 s4, 0x1388
	v_mul_lo_u32 v6, v6, s4
	v_mov_b32_e32 v8, 1
	v_cmp_ne_u32_e32 vcc, 0, v6
	s_and_saveexec_b64 s[4:5], vcc
	s_cbranch_execz .LBB31_611
; %bb.125:
	v_mov_b32_e32 v7, 0
	v_mov_b32_e32 v10, 1
	;; [unrolled: 1-line block ×3, first 2 shown]
	s_mov_b64 s[16:17], 0xbc8f
	v_mov_b32_e32 v11, 0
	s_mov_b64 s[14:15], 0
	s_brev_b32 s20, -2
	v_mov_b32_e32 v8, v6
	s_branch .LBB31_127
.LBB31_126:                             ;   in Loop: Header=BB31_127 Depth=1
	s_or_b64 exec, exec, s[18:19]
	s_mul_i32 s17, s16, s17
	s_mul_hi_u32 s18, s16, s16
	s_add_i32 s18, s18, s17
	s_add_i32 s18, s18, s17
	s_mul_i32 s19, s16, s16
	s_mul_i32 s17, s18, 3
	s_mul_hi_u32 s21, s19, 3
	s_mul_hi_u32 s16, s18, 3
	s_add_u32 s17, s17, s21
	s_addc_u32 s16, s16, 0
	s_mul_i32 s22, s19, 0x80000001
	s_mul_hi_u32 s21, s19, 0x80000001
	s_add_u32 s17, s22, s17
	s_addc_u32 s17, s21, 0
	s_add_u32 s16, s16, s17
	s_addc_u32 s17, 0, 0
	s_mul_i32 s22, s18, 0x80000001
	s_mul_hi_u32 s21, s18, 0x80000001
	s_add_u32 s16, s22, s16
	s_addc_u32 s17, s21, s17
	s_lshr_b32 s21, s17, 30
	s_lshr_b64 s[16:17], s[16:17], 30
	s_mul_i32 s21, s21, 0x7fffffff
	s_mul_hi_u32 s17, s16, 0x7fffffff
	v_lshrrev_b64 v[16:17], 1, v[8:9]
	s_add_i32 s17, s17, s21
	s_mul_i32 s16, s16, 0x7fffffff
	s_sub_u32 s16, s19, s16
	v_cmp_gt_u64_e32 vcc, 2, v[8:9]
	s_subb_u32 s17, s18, s17
	v_mov_b32_e32 v8, v16
	s_or_b64 s[14:15], vcc, s[14:15]
	v_mov_b32_e32 v9, v17
	s_andn2_b64 exec, exec, s[14:15]
	s_cbranch_execz .LBB31_610
.LBB31_127:                             ; =>This Inner Loop Header: Depth=1
	v_and_b32_e32 v6, 1, v8
	v_cmp_eq_u32_e32 vcc, 1, v6
	s_and_saveexec_b64 s[18:19], vcc
	s_cbranch_execz .LBB31_126
; %bb.128:                              ;   in Loop: Header=BB31_127 Depth=1
	v_mad_u64_u32 v[16:17], s[22:23], s16, v10, 0
	v_mul_lo_u32 v10, s17, v10
	v_mul_lo_u32 v11, s16, v11
	v_mul_hi_u32 v6, v16, 5
	v_add3_u32 v19, v17, v11, v10
	v_mad_u64_u32 v[10:11], s[22:23], v19, 5, v[6:7]
	v_mov_b32_e32 v6, v10
	v_mad_u64_u32 v[17:18], s[22:23], v16, 2, v[6:7]
	v_add_co_u32_e32 v10, vcc, v11, v18
	v_addc_co_u32_e64 v11, s[22:23], 0, 0, vcc
	v_mad_u64_u32 v[10:11], s[22:23], v19, 2, v[10:11]
	v_sub_co_u32_e32 v17, vcc, v16, v10
	v_subb_co_u32_e32 v18, vcc, v19, v11, vcc
	v_lshrrev_b64 v[17:18], 1, v[17:18]
	v_add_co_u32_e32 v6, vcc, v17, v10
	v_addc_co_u32_e32 v17, vcc, v18, v11, vcc
	v_alignbit_b32 v6, v17, v6, 30
	v_mad_u64_u32 v[10:11], s[22:23], v6, s20, 0
	v_lshrrev_b32_e32 v17, 30, v17
	v_mov_b32_e32 v6, v11
	v_mad_u64_u32 v[17:18], s[22:23], v17, s20, v[6:7]
	v_sub_co_u32_e32 v10, vcc, v16, v10
	v_subb_co_u32_e32 v11, vcc, v19, v17, vcc
	s_branch .LBB31_126
.LBB31_129:
	s_or_b64 exec, exec, s[6:7]
	v_add_u32_e32 v7, 0x80000001, v11
	v_min_u32_e32 v7, v7, v11
	v_add_u32_e32 v8, 0x80000001, v7
	v_min_u32_e32 v8, v8, v7
.LBB31_130:
	s_or_b64 exec, exec, s[4:5]
	v_mov_b32_e32 v16, 0
	s_movk_i32 s6, 0x1388
	s_mov_b32 s7, 0xbc8f1391
	s_mov_b32 s8, 0xbc8f
	s_brev_b32 s9, 12
	s_mov_b32 s16, 0xf800000
	v_mov_b32_e32 v7, 0x260
.LBB31_131:                             ; =>This Inner Loop Header: Depth=1
	v_mul_hi_u32 v9, v8, s7
	v_add_f32_e32 v10, 1.0, v16
	s_add_i32 s6, s6, -2
	s_cmp_lg_u32 s6, 0
	v_lshrrev_b32_e32 v9, 15, v9
	v_mul_u32_u24_e32 v11, 0xadc8, v9
	v_sub_u32_e32 v8, v8, v11
	v_mul_lo_u32 v8, v8, s8
	v_mul_u32_u24_e32 v9, 0xd47, v9
	v_xor_b32_e32 v11, 0x7fffffff, v9
	v_sub_u32_e32 v12, 0, v9
	v_cmp_lt_u32_e32 vcc, v8, v9
	v_cndmask_b32_e32 v9, v12, v11, vcc
	v_add_u32_e32 v8, v9, v8
	v_mul_hi_u32 v11, v8, s7
	v_add_u32_e32 v9, -1, v8
	v_cvt_f32_u32_e32 v9, v9
	v_lshrrev_b32_e32 v11, 15, v11
	v_mul_u32_u24_e32 v12, 0xadc8, v11
	v_sub_u32_e32 v8, v8, v12
	v_mul_lo_u32 v8, v8, s8
	v_mul_u32_u24_e32 v11, 0xd47, v11
	v_xor_b32_e32 v12, 0x7fffffff, v11
	v_sub_u32_e32 v17, 0, v11
	v_cmp_lt_u32_e32 vcc, v8, v11
	v_cndmask_b32_e32 v11, v17, v12, vcc
	v_add_u32_e32 v8, v11, v8
	v_mul_hi_u32 v12, v8, s7
	v_add_u32_e32 v11, -1, v8
	v_cvt_f32_u32_e32 v11, v11
	v_fma_f32 v9, v9, s9, 0
	v_lshrrev_b32_e32 v12, 15, v12
	v_mul_u32_u24_e32 v17, 0xadc8, v12
	v_fma_f32 v11, v11, s9, 0
	v_sub_u32_e32 v8, v8, v17
	v_mul_f32_e32 v11, v11, v11
	v_mul_lo_u32 v8, v8, s8
	v_fmac_f32_e32 v11, v9, v9
	v_mul_f32_e32 v9, 0x4f800000, v11
	v_cmp_gt_f32_e32 vcc, s16, v11
	v_mul_u32_u24_e32 v12, 0xd47, v12
	v_cndmask_b32_e32 v9, v11, v9, vcc
	v_xor_b32_e32 v17, 0x7fffffff, v12
	v_sub_u32_e32 v18, 0, v12
	v_sqrt_f32_e32 v11, v9
	v_cmp_lt_u32_e64 s[4:5], v8, v12
	v_cndmask_b32_e64 v12, v18, v17, s[4:5]
	v_add_u32_e32 v8, v12, v8
	v_mul_hi_u32 v17, v8, s7
	v_add_u32_e32 v18, -1, v11
	v_add_u32_e32 v19, 1, v11
	v_fma_f32 v20, -v18, v11, v9
	v_fma_f32 v21, -v19, v11, v9
	v_cmp_ge_f32_e64 s[4:5], 0, v20
	v_cndmask_b32_e64 v11, v11, v18, s[4:5]
	v_cmp_lt_f32_e64 s[4:5], 0, v21
	v_lshrrev_b32_e32 v17, 15, v17
	v_cndmask_b32_e64 v11, v11, v19, s[4:5]
	v_mul_u32_u24_e32 v19, 0xadc8, v17
	v_add_u32_e32 v12, -1, v8
	v_sub_u32_e32 v8, v8, v19
	v_mul_f32_e32 v18, 0x37800000, v11
	v_mul_lo_u32 v8, v8, s8
	v_cndmask_b32_e32 v11, v11, v18, vcc
	v_cmp_class_f32_e32 vcc, v9, v7
	v_cndmask_b32_e32 v9, v11, v9, vcc
	v_mul_u32_u24_e32 v17, 0xd47, v17
	v_cmp_nge_f32_e32 vcc, 1.0, v9
	v_xor_b32_e32 v18, 0x7fffffff, v17
	v_sub_u32_e32 v19, 0, v17
	v_cndmask_b32_e32 v9, v10, v16, vcc
	v_cmp_lt_u32_e32 vcc, v8, v17
	v_cndmask_b32_e32 v11, v19, v18, vcc
	v_add_u32_e32 v8, v11, v8
	v_add_u32_e32 v11, -1, v8
	v_cvt_f32_u32_e32 v11, v11
	v_cvt_f32_u32_e32 v12, v12
	v_add_f32_e32 v10, 1.0, v9
	v_fma_f32 v11, v11, s9, 0
	v_fma_f32 v12, v12, s9, 0
	v_mul_f32_e32 v11, v11, v11
	v_fmac_f32_e32 v11, v12, v12
	v_mul_f32_e32 v12, 0x4f800000, v11
	v_cmp_gt_f32_e32 vcc, s16, v11
	v_cndmask_b32_e32 v11, v11, v12, vcc
	v_sqrt_f32_e32 v12, v11
	v_add_u32_e32 v16, -1, v12
	v_add_u32_e32 v17, 1, v12
	v_fma_f32 v18, -v16, v12, v11
	v_fma_f32 v19, -v17, v12, v11
	v_cmp_ge_f32_e64 s[4:5], 0, v18
	v_cndmask_b32_e64 v12, v12, v16, s[4:5]
	v_cmp_lt_f32_e64 s[4:5], 0, v19
	v_cndmask_b32_e64 v12, v12, v17, s[4:5]
	v_mul_f32_e32 v16, 0x37800000, v12
	v_cndmask_b32_e32 v12, v12, v16, vcc
	v_cmp_class_f32_e32 vcc, v11, v7
	v_cndmask_b32_e32 v11, v12, v11, vcc
	v_cmp_nge_f32_e32 vcc, 1.0, v11
	v_cndmask_b32_e32 v16, v10, v9, vcc
	s_cbranch_scc1 .LBB31_131
; %bb.132:
	v_add_u32_e32 v7, 0x271000, v6
	v_cmp_ne_u32_e32 vcc, 0, v7
	v_mov_b32_e32 v8, 1
	s_and_saveexec_b64 s[4:5], vcc
	s_cbranch_execz .LBB31_162
; %bb.133:
	v_mov_b32_e32 v8, 0
	v_mov_b32_e32 v11, 1
	v_mov_b32_e32 v10, v8
	s_mov_b64 s[8:9], 0xbc8f
	v_mov_b32_e32 v12, 0
	s_mov_b64 s[6:7], 0
	s_brev_b32 s19, -2
	v_mov_b32_e32 v9, v7
	s_branch .LBB31_135
.LBB31_134:                             ;   in Loop: Header=BB31_135 Depth=1
	s_or_b64 exec, exec, s[16:17]
	s_mul_i32 s9, s8, s9
	s_mul_hi_u32 s16, s8, s8
	s_add_i32 s16, s16, s9
	s_add_i32 s16, s16, s9
	s_mul_i32 s17, s8, s8
	s_mul_i32 s9, s16, 3
	s_mul_hi_u32 s20, s17, 3
	s_mul_hi_u32 s8, s16, 3
	s_add_u32 s9, s9, s20
	s_addc_u32 s8, s8, 0
	s_mul_i32 s21, s17, 0x80000001
	s_mul_hi_u32 s20, s17, 0x80000001
	s_add_u32 s9, s21, s9
	s_addc_u32 s9, s20, 0
	s_add_u32 s8, s8, s9
	s_addc_u32 s9, 0, 0
	s_mul_i32 s21, s16, 0x80000001
	s_mul_hi_u32 s20, s16, 0x80000001
	s_add_u32 s8, s21, s8
	s_addc_u32 s9, s20, s9
	s_lshr_b32 s20, s9, 30
	s_lshr_b64 s[8:9], s[8:9], 30
	s_mul_i32 s20, s20, 0x7fffffff
	s_mul_hi_u32 s9, s8, 0x7fffffff
	v_lshrrev_b64 v[17:18], 1, v[9:10]
	s_add_i32 s9, s9, s20
	s_mul_i32 s8, s8, 0x7fffffff
	s_sub_u32 s8, s17, s8
	v_cmp_gt_u64_e32 vcc, 2, v[9:10]
	s_subb_u32 s9, s16, s9
	v_mov_b32_e32 v9, v17
	s_or_b64 s[6:7], vcc, s[6:7]
	v_mov_b32_e32 v10, v18
	s_andn2_b64 exec, exec, s[6:7]
	s_cbranch_execz .LBB31_161
.LBB31_135:                             ; =>This Inner Loop Header: Depth=1
	v_and_b32_e32 v7, 1, v9
	v_cmp_eq_u32_e32 vcc, 1, v7
	s_and_saveexec_b64 s[16:17], vcc
	s_cbranch_execz .LBB31_134
; %bb.136:                              ;   in Loop: Header=BB31_135 Depth=1
	v_mad_u64_u32 v[17:18], s[20:21], s8, v11, 0
	v_mul_lo_u32 v11, s9, v11
	v_mul_lo_u32 v12, s8, v12
	v_mul_hi_u32 v7, v17, 5
	v_add3_u32 v20, v18, v12, v11
	v_mad_u64_u32 v[11:12], s[20:21], v20, 5, v[7:8]
	v_mov_b32_e32 v7, v11
	v_mad_u64_u32 v[18:19], s[20:21], v17, 2, v[7:8]
	v_add_co_u32_e32 v11, vcc, v12, v19
	v_addc_co_u32_e64 v12, s[20:21], 0, 0, vcc
	v_mad_u64_u32 v[11:12], s[20:21], v20, 2, v[11:12]
	v_sub_co_u32_e32 v18, vcc, v17, v11
	v_subb_co_u32_e32 v19, vcc, v20, v12, vcc
	v_lshrrev_b64 v[18:19], 1, v[18:19]
	v_add_co_u32_e32 v7, vcc, v18, v11
	v_addc_co_u32_e32 v18, vcc, v19, v12, vcc
	v_alignbit_b32 v7, v18, v7, 30
	v_mad_u64_u32 v[11:12], s[20:21], v7, s19, 0
	v_lshrrev_b32_e32 v18, 30, v18
	v_mov_b32_e32 v7, v12
	v_mad_u64_u32 v[18:19], s[20:21], v18, s19, v[7:8]
	v_sub_co_u32_e32 v11, vcc, v17, v11
	v_subb_co_u32_e32 v12, vcc, v20, v18, vcc
	s_branch .LBB31_134
.LBB31_137:
	s_or_b64 exec, exec, s[6:7]
	v_add_u32_e32 v7, 0x80000001, v11
	v_min_u32_e32 v7, v7, v11
	v_add_u32_e32 v8, 0x80000001, v7
	v_min_u32_e32 v8, v8, v7
.LBB31_138:
	s_or_b64 exec, exec, s[4:5]
	v_mov_b32_e32 v16, 0
	s_movk_i32 s6, 0x1388
	s_mov_b32 s7, 0xbc8f1391
	s_mov_b32 s8, 0xbc8f
	s_brev_b32 s9, 12
	s_mov_b32 s14, 0xf800000
	v_mov_b32_e32 v7, 0x260
.LBB31_139:                             ; =>This Inner Loop Header: Depth=1
	v_mul_hi_u32 v9, v8, s7
	v_add_f32_e32 v10, 1.0, v16
	s_add_i32 s6, s6, -2
	s_cmp_lg_u32 s6, 0
	v_lshrrev_b32_e32 v9, 15, v9
	v_mul_u32_u24_e32 v11, 0xadc8, v9
	v_sub_u32_e32 v8, v8, v11
	v_mul_lo_u32 v8, v8, s8
	v_mul_u32_u24_e32 v9, 0xd47, v9
	v_xor_b32_e32 v11, 0x7fffffff, v9
	v_sub_u32_e32 v12, 0, v9
	v_cmp_lt_u32_e32 vcc, v8, v9
	v_cndmask_b32_e32 v9, v12, v11, vcc
	v_add_u32_e32 v8, v9, v8
	v_mul_hi_u32 v11, v8, s7
	v_add_u32_e32 v9, -1, v8
	v_cvt_f32_u32_e32 v9, v9
	v_lshrrev_b32_e32 v11, 15, v11
	v_mul_u32_u24_e32 v12, 0xadc8, v11
	v_sub_u32_e32 v8, v8, v12
	v_mul_lo_u32 v8, v8, s8
	v_mul_u32_u24_e32 v11, 0xd47, v11
	v_xor_b32_e32 v12, 0x7fffffff, v11
	v_sub_u32_e32 v17, 0, v11
	v_cmp_lt_u32_e32 vcc, v8, v11
	v_cndmask_b32_e32 v11, v17, v12, vcc
	v_add_u32_e32 v8, v11, v8
	v_mul_hi_u32 v12, v8, s7
	v_add_u32_e32 v11, -1, v8
	v_cvt_f32_u32_e32 v11, v11
	v_fma_f32 v9, v9, s9, 0
	v_lshrrev_b32_e32 v12, 15, v12
	v_mul_u32_u24_e32 v17, 0xadc8, v12
	v_fma_f32 v11, v11, s9, 0
	v_sub_u32_e32 v8, v8, v17
	v_mul_f32_e32 v11, v11, v11
	v_mul_lo_u32 v8, v8, s8
	v_fmac_f32_e32 v11, v9, v9
	v_mul_f32_e32 v9, 0x4f800000, v11
	v_cmp_gt_f32_e32 vcc, s14, v11
	v_mul_u32_u24_e32 v12, 0xd47, v12
	v_cndmask_b32_e32 v9, v11, v9, vcc
	v_xor_b32_e32 v17, 0x7fffffff, v12
	v_sub_u32_e32 v18, 0, v12
	v_sqrt_f32_e32 v11, v9
	v_cmp_lt_u32_e64 s[4:5], v8, v12
	v_cndmask_b32_e64 v12, v18, v17, s[4:5]
	v_add_u32_e32 v8, v12, v8
	v_mul_hi_u32 v17, v8, s7
	v_add_u32_e32 v18, -1, v11
	v_add_u32_e32 v19, 1, v11
	v_fma_f32 v20, -v18, v11, v9
	v_fma_f32 v21, -v19, v11, v9
	v_cmp_ge_f32_e64 s[4:5], 0, v20
	v_cndmask_b32_e64 v11, v11, v18, s[4:5]
	v_cmp_lt_f32_e64 s[4:5], 0, v21
	v_lshrrev_b32_e32 v17, 15, v17
	v_cndmask_b32_e64 v11, v11, v19, s[4:5]
	v_mul_u32_u24_e32 v19, 0xadc8, v17
	v_add_u32_e32 v12, -1, v8
	v_sub_u32_e32 v8, v8, v19
	v_mul_f32_e32 v18, 0x37800000, v11
	v_mul_lo_u32 v8, v8, s8
	v_cndmask_b32_e32 v11, v11, v18, vcc
	v_cmp_class_f32_e32 vcc, v9, v7
	v_cndmask_b32_e32 v9, v11, v9, vcc
	v_mul_u32_u24_e32 v17, 0xd47, v17
	v_cmp_nge_f32_e32 vcc, 1.0, v9
	v_xor_b32_e32 v18, 0x7fffffff, v17
	v_sub_u32_e32 v19, 0, v17
	v_cndmask_b32_e32 v9, v10, v16, vcc
	v_cmp_lt_u32_e32 vcc, v8, v17
	v_cndmask_b32_e32 v11, v19, v18, vcc
	v_add_u32_e32 v8, v11, v8
	v_add_u32_e32 v11, -1, v8
	v_cvt_f32_u32_e32 v11, v11
	v_cvt_f32_u32_e32 v12, v12
	v_add_f32_e32 v10, 1.0, v9
	v_fma_f32 v11, v11, s9, 0
	v_fma_f32 v12, v12, s9, 0
	v_mul_f32_e32 v11, v11, v11
	v_fmac_f32_e32 v11, v12, v12
	v_mul_f32_e32 v12, 0x4f800000, v11
	v_cmp_gt_f32_e32 vcc, s14, v11
	v_cndmask_b32_e32 v11, v11, v12, vcc
	v_sqrt_f32_e32 v12, v11
	v_add_u32_e32 v16, -1, v12
	v_add_u32_e32 v17, 1, v12
	v_fma_f32 v18, -v16, v12, v11
	v_fma_f32 v19, -v17, v12, v11
	v_cmp_ge_f32_e64 s[4:5], 0, v18
	v_cndmask_b32_e64 v12, v12, v16, s[4:5]
	v_cmp_lt_f32_e64 s[4:5], 0, v19
	v_cndmask_b32_e64 v12, v12, v17, s[4:5]
	v_mul_f32_e32 v16, 0x37800000, v12
	v_cndmask_b32_e32 v12, v12, v16, vcc
	v_cmp_class_f32_e32 vcc, v11, v7
	v_cndmask_b32_e32 v11, v12, v11, vcc
	v_cmp_nge_f32_e32 vcc, 1.0, v11
	v_cndmask_b32_e32 v16, v10, v9, vcc
	s_cbranch_scc1 .LBB31_139
; %bb.140:
	v_add_u32_e32 v7, 0x271000, v6
	v_cmp_ne_u32_e32 vcc, 0, v7
	v_mov_b32_e32 v8, 1
	s_and_saveexec_b64 s[4:5], vcc
	s_cbranch_execz .LBB31_170
; %bb.141:
	v_mov_b32_e32 v8, 0
	v_mov_b32_e32 v11, 1
	;; [unrolled: 1-line block ×3, first 2 shown]
	s_mov_b64 s[8:9], 0xbc8f
	v_mov_b32_e32 v12, 0
	s_mov_b64 s[6:7], 0
	s_brev_b32 s17, -2
	v_mov_b32_e32 v9, v7
	s_branch .LBB31_143
.LBB31_142:                             ;   in Loop: Header=BB31_143 Depth=1
	s_or_b64 exec, exec, s[14:15]
	s_mul_i32 s9, s8, s9
	s_mul_hi_u32 s14, s8, s8
	s_add_i32 s14, s14, s9
	s_add_i32 s14, s14, s9
	s_mul_i32 s15, s8, s8
	s_mul_i32 s9, s14, 3
	s_mul_hi_u32 s18, s15, 3
	s_mul_hi_u32 s8, s14, 3
	s_add_u32 s9, s9, s18
	s_addc_u32 s8, s8, 0
	s_mul_i32 s19, s15, 0x80000001
	s_mul_hi_u32 s18, s15, 0x80000001
	s_add_u32 s9, s19, s9
	s_addc_u32 s9, s18, 0
	s_add_u32 s8, s8, s9
	s_addc_u32 s9, 0, 0
	s_mul_i32 s19, s14, 0x80000001
	s_mul_hi_u32 s18, s14, 0x80000001
	s_add_u32 s8, s19, s8
	s_addc_u32 s9, s18, s9
	s_lshr_b32 s18, s9, 30
	s_lshr_b64 s[8:9], s[8:9], 30
	s_mul_i32 s18, s18, 0x7fffffff
	s_mul_hi_u32 s9, s8, 0x7fffffff
	v_lshrrev_b64 v[17:18], 1, v[9:10]
	s_add_i32 s9, s9, s18
	s_mul_i32 s8, s8, 0x7fffffff
	s_sub_u32 s8, s15, s8
	v_cmp_gt_u64_e32 vcc, 2, v[9:10]
	s_subb_u32 s9, s14, s9
	v_mov_b32_e32 v9, v17
	s_or_b64 s[6:7], vcc, s[6:7]
	v_mov_b32_e32 v10, v18
	s_andn2_b64 exec, exec, s[6:7]
	s_cbranch_execz .LBB31_169
.LBB31_143:                             ; =>This Inner Loop Header: Depth=1
	v_and_b32_e32 v7, 1, v9
	v_cmp_eq_u32_e32 vcc, 1, v7
	s_and_saveexec_b64 s[14:15], vcc
	s_cbranch_execz .LBB31_142
; %bb.144:                              ;   in Loop: Header=BB31_143 Depth=1
	v_mad_u64_u32 v[17:18], s[18:19], s8, v11, 0
	v_mul_lo_u32 v11, s9, v11
	v_mul_lo_u32 v12, s8, v12
	v_mul_hi_u32 v7, v17, 5
	v_add3_u32 v20, v18, v12, v11
	v_mad_u64_u32 v[11:12], s[18:19], v20, 5, v[7:8]
	v_mov_b32_e32 v7, v11
	v_mad_u64_u32 v[18:19], s[18:19], v17, 2, v[7:8]
	v_add_co_u32_e32 v11, vcc, v12, v19
	v_addc_co_u32_e64 v12, s[18:19], 0, 0, vcc
	v_mad_u64_u32 v[11:12], s[18:19], v20, 2, v[11:12]
	v_sub_co_u32_e32 v18, vcc, v17, v11
	v_subb_co_u32_e32 v19, vcc, v20, v12, vcc
	v_lshrrev_b64 v[18:19], 1, v[18:19]
	v_add_co_u32_e32 v7, vcc, v18, v11
	v_addc_co_u32_e32 v18, vcc, v19, v12, vcc
	v_alignbit_b32 v7, v18, v7, 30
	v_mad_u64_u32 v[11:12], s[18:19], v7, s17, 0
	v_lshrrev_b32_e32 v18, 30, v18
	v_mov_b32_e32 v7, v12
	v_mad_u64_u32 v[18:19], s[18:19], v18, s17, v[7:8]
	v_sub_co_u32_e32 v11, vcc, v17, v11
	v_subb_co_u32_e32 v12, vcc, v20, v18, vcc
	s_branch .LBB31_142
.LBB31_145:
	s_or_b64 exec, exec, s[6:7]
	v_add_u32_e32 v7, 0x80000001, v11
	v_min_u32_e32 v7, v7, v11
	v_add_u32_e32 v8, 0x80000001, v7
	v_min_u32_e32 v8, v8, v7
.LBB31_146:
	s_or_b64 exec, exec, s[4:5]
	v_mov_b32_e32 v16, 0
	s_movk_i32 s6, 0x1388
	s_mov_b32 s7, 0xbc8f1391
	s_mov_b32 s8, 0xbc8f
	s_brev_b32 s9, 12
	s_mov_b32 s14, 0xf800000
	v_mov_b32_e32 v7, 0x260
.LBB31_147:                             ; =>This Inner Loop Header: Depth=1
	v_mul_hi_u32 v9, v8, s7
	v_add_f32_e32 v10, 1.0, v16
	s_add_i32 s6, s6, -2
	s_cmp_lg_u32 s6, 0
	v_lshrrev_b32_e32 v9, 15, v9
	v_mul_u32_u24_e32 v11, 0xadc8, v9
	v_sub_u32_e32 v8, v8, v11
	v_mul_lo_u32 v8, v8, s8
	v_mul_u32_u24_e32 v9, 0xd47, v9
	v_xor_b32_e32 v11, 0x7fffffff, v9
	v_sub_u32_e32 v12, 0, v9
	v_cmp_lt_u32_e32 vcc, v8, v9
	v_cndmask_b32_e32 v9, v12, v11, vcc
	v_add_u32_e32 v8, v9, v8
	v_mul_hi_u32 v11, v8, s7
	v_add_u32_e32 v9, -1, v8
	v_cvt_f32_u32_e32 v9, v9
	v_lshrrev_b32_e32 v11, 15, v11
	v_mul_u32_u24_e32 v12, 0xadc8, v11
	v_sub_u32_e32 v8, v8, v12
	v_mul_lo_u32 v8, v8, s8
	v_mul_u32_u24_e32 v11, 0xd47, v11
	v_xor_b32_e32 v12, 0x7fffffff, v11
	v_sub_u32_e32 v17, 0, v11
	v_cmp_lt_u32_e32 vcc, v8, v11
	v_cndmask_b32_e32 v11, v17, v12, vcc
	v_add_u32_e32 v8, v11, v8
	v_mul_hi_u32 v12, v8, s7
	v_add_u32_e32 v11, -1, v8
	v_cvt_f32_u32_e32 v11, v11
	v_fma_f32 v9, v9, s9, 0
	v_lshrrev_b32_e32 v12, 15, v12
	v_mul_u32_u24_e32 v17, 0xadc8, v12
	v_fma_f32 v11, v11, s9, 0
	v_sub_u32_e32 v8, v8, v17
	v_mul_f32_e32 v11, v11, v11
	v_mul_lo_u32 v8, v8, s8
	v_fmac_f32_e32 v11, v9, v9
	v_mul_f32_e32 v9, 0x4f800000, v11
	v_cmp_gt_f32_e32 vcc, s14, v11
	v_mul_u32_u24_e32 v12, 0xd47, v12
	v_cndmask_b32_e32 v9, v11, v9, vcc
	v_xor_b32_e32 v17, 0x7fffffff, v12
	v_sub_u32_e32 v18, 0, v12
	v_sqrt_f32_e32 v11, v9
	v_cmp_lt_u32_e64 s[4:5], v8, v12
	v_cndmask_b32_e64 v12, v18, v17, s[4:5]
	v_add_u32_e32 v8, v12, v8
	v_mul_hi_u32 v17, v8, s7
	v_add_u32_e32 v18, -1, v11
	v_add_u32_e32 v19, 1, v11
	v_fma_f32 v20, -v18, v11, v9
	v_fma_f32 v21, -v19, v11, v9
	v_cmp_ge_f32_e64 s[4:5], 0, v20
	v_cndmask_b32_e64 v11, v11, v18, s[4:5]
	v_cmp_lt_f32_e64 s[4:5], 0, v21
	v_lshrrev_b32_e32 v17, 15, v17
	v_cndmask_b32_e64 v11, v11, v19, s[4:5]
	v_mul_u32_u24_e32 v19, 0xadc8, v17
	v_add_u32_e32 v12, -1, v8
	v_sub_u32_e32 v8, v8, v19
	v_mul_f32_e32 v18, 0x37800000, v11
	v_mul_lo_u32 v8, v8, s8
	v_cndmask_b32_e32 v11, v11, v18, vcc
	v_cmp_class_f32_e32 vcc, v9, v7
	v_cndmask_b32_e32 v9, v11, v9, vcc
	v_mul_u32_u24_e32 v17, 0xd47, v17
	v_cmp_nge_f32_e32 vcc, 1.0, v9
	v_xor_b32_e32 v18, 0x7fffffff, v17
	v_sub_u32_e32 v19, 0, v17
	v_cndmask_b32_e32 v9, v10, v16, vcc
	v_cmp_lt_u32_e32 vcc, v8, v17
	v_cndmask_b32_e32 v11, v19, v18, vcc
	v_add_u32_e32 v8, v11, v8
	v_add_u32_e32 v11, -1, v8
	v_cvt_f32_u32_e32 v11, v11
	v_cvt_f32_u32_e32 v12, v12
	v_add_f32_e32 v10, 1.0, v9
	v_fma_f32 v11, v11, s9, 0
	v_fma_f32 v12, v12, s9, 0
	v_mul_f32_e32 v11, v11, v11
	v_fmac_f32_e32 v11, v12, v12
	v_mul_f32_e32 v12, 0x4f800000, v11
	v_cmp_gt_f32_e32 vcc, s14, v11
	v_cndmask_b32_e32 v11, v11, v12, vcc
	v_sqrt_f32_e32 v12, v11
	v_add_u32_e32 v16, -1, v12
	v_add_u32_e32 v17, 1, v12
	v_fma_f32 v18, -v16, v12, v11
	v_fma_f32 v19, -v17, v12, v11
	v_cmp_ge_f32_e64 s[4:5], 0, v18
	v_cndmask_b32_e64 v12, v12, v16, s[4:5]
	v_cmp_lt_f32_e64 s[4:5], 0, v19
	v_cndmask_b32_e64 v12, v12, v17, s[4:5]
	v_mul_f32_e32 v16, 0x37800000, v12
	v_cndmask_b32_e32 v12, v12, v16, vcc
	v_cmp_class_f32_e32 vcc, v11, v7
	v_cndmask_b32_e32 v11, v12, v11, vcc
	v_cmp_nge_f32_e32 vcc, 1.0, v11
	v_cndmask_b32_e32 v16, v10, v9, vcc
	s_cbranch_scc1 .LBB31_147
; %bb.148:
	v_add_u32_e32 v7, 0x271000, v6
	v_cmp_ne_u32_e32 vcc, 0, v7
	v_mov_b32_e32 v8, 1
	s_and_saveexec_b64 s[4:5], vcc
	s_cbranch_execz .LBB31_178
; %bb.149:
	v_mov_b32_e32 v8, 0
	v_mov_b32_e32 v11, 1
	;; [unrolled: 1-line block ×3, first 2 shown]
	s_mov_b64 s[8:9], 0xbc8f
	v_mov_b32_e32 v12, 0
	s_mov_b64 s[6:7], 0
	s_brev_b32 s17, -2
	v_mov_b32_e32 v9, v7
	s_branch .LBB31_151
.LBB31_150:                             ;   in Loop: Header=BB31_151 Depth=1
	s_or_b64 exec, exec, s[14:15]
	s_mul_i32 s9, s8, s9
	s_mul_hi_u32 s14, s8, s8
	s_add_i32 s14, s14, s9
	s_add_i32 s14, s14, s9
	s_mul_i32 s15, s8, s8
	s_mul_i32 s9, s14, 3
	s_mul_hi_u32 s18, s15, 3
	s_mul_hi_u32 s8, s14, 3
	s_add_u32 s9, s9, s18
	s_addc_u32 s8, s8, 0
	s_mul_i32 s19, s15, 0x80000001
	s_mul_hi_u32 s18, s15, 0x80000001
	s_add_u32 s9, s19, s9
	s_addc_u32 s9, s18, 0
	s_add_u32 s8, s8, s9
	s_addc_u32 s9, 0, 0
	s_mul_i32 s19, s14, 0x80000001
	s_mul_hi_u32 s18, s14, 0x80000001
	s_add_u32 s8, s19, s8
	s_addc_u32 s9, s18, s9
	s_lshr_b32 s18, s9, 30
	s_lshr_b64 s[8:9], s[8:9], 30
	s_mul_i32 s18, s18, 0x7fffffff
	s_mul_hi_u32 s9, s8, 0x7fffffff
	v_lshrrev_b64 v[17:18], 1, v[9:10]
	s_add_i32 s9, s9, s18
	s_mul_i32 s8, s8, 0x7fffffff
	s_sub_u32 s8, s15, s8
	v_cmp_gt_u64_e32 vcc, 2, v[9:10]
	s_subb_u32 s9, s14, s9
	v_mov_b32_e32 v9, v17
	s_or_b64 s[6:7], vcc, s[6:7]
	v_mov_b32_e32 v10, v18
	s_andn2_b64 exec, exec, s[6:7]
	s_cbranch_execz .LBB31_177
.LBB31_151:                             ; =>This Inner Loop Header: Depth=1
	v_and_b32_e32 v7, 1, v9
	v_cmp_eq_u32_e32 vcc, 1, v7
	s_and_saveexec_b64 s[14:15], vcc
	s_cbranch_execz .LBB31_150
; %bb.152:                              ;   in Loop: Header=BB31_151 Depth=1
	v_mad_u64_u32 v[17:18], s[18:19], s8, v11, 0
	v_mul_lo_u32 v11, s9, v11
	v_mul_lo_u32 v12, s8, v12
	v_mul_hi_u32 v7, v17, 5
	v_add3_u32 v20, v18, v12, v11
	v_mad_u64_u32 v[11:12], s[18:19], v20, 5, v[7:8]
	v_mov_b32_e32 v7, v11
	v_mad_u64_u32 v[18:19], s[18:19], v17, 2, v[7:8]
	v_add_co_u32_e32 v11, vcc, v12, v19
	v_addc_co_u32_e64 v12, s[18:19], 0, 0, vcc
	v_mad_u64_u32 v[11:12], s[18:19], v20, 2, v[11:12]
	v_sub_co_u32_e32 v18, vcc, v17, v11
	v_subb_co_u32_e32 v19, vcc, v20, v12, vcc
	v_lshrrev_b64 v[18:19], 1, v[18:19]
	v_add_co_u32_e32 v7, vcc, v18, v11
	v_addc_co_u32_e32 v18, vcc, v19, v12, vcc
	v_alignbit_b32 v7, v18, v7, 30
	v_mad_u64_u32 v[11:12], s[18:19], v7, s17, 0
	v_lshrrev_b32_e32 v18, 30, v18
	v_mov_b32_e32 v7, v12
	v_mad_u64_u32 v[18:19], s[18:19], v18, s17, v[7:8]
	v_sub_co_u32_e32 v11, vcc, v17, v11
	v_subb_co_u32_e32 v12, vcc, v20, v18, vcc
	s_branch .LBB31_150
.LBB31_153:
	s_or_b64 exec, exec, s[6:7]
	v_add_u32_e32 v5, 0x80000001, v9
	v_min_u32_e32 v5, v5, v9
	v_add_u32_e32 v6, 0x80000001, v5
	v_min_u32_e32 v6, v6, v5
.LBB31_154:
	s_or_b64 exec, exec, s[4:5]
	v_mov_b32_e32 v14, 0
	s_movk_i32 s6, 0x1388
	s_mov_b32 s7, 0xbc8f1391
	s_mov_b32 s8, 0xbc8f
	s_brev_b32 s9, 12
	s_mov_b32 s14, 0xf800000
	v_mov_b32_e32 v5, 0x260
.LBB31_155:                             ; =>This Inner Loop Header: Depth=1
	v_mul_hi_u32 v7, v6, s7
	v_add_f32_e32 v8, 1.0, v14
	s_add_i32 s6, s6, -2
	s_cmp_lg_u32 s6, 0
	v_lshrrev_b32_e32 v7, 15, v7
	v_mul_u32_u24_e32 v9, 0xadc8, v7
	v_sub_u32_e32 v6, v6, v9
	v_mul_lo_u32 v6, v6, s8
	v_mul_u32_u24_e32 v7, 0xd47, v7
	v_xor_b32_e32 v9, 0x7fffffff, v7
	v_sub_u32_e32 v10, 0, v7
	v_cmp_lt_u32_e32 vcc, v6, v7
	v_cndmask_b32_e32 v7, v10, v9, vcc
	v_add_u32_e32 v6, v7, v6
	v_mul_hi_u32 v9, v6, s7
	v_add_u32_e32 v7, -1, v6
	v_cvt_f32_u32_e32 v7, v7
	v_lshrrev_b32_e32 v9, 15, v9
	v_mul_u32_u24_e32 v10, 0xadc8, v9
	v_sub_u32_e32 v6, v6, v10
	v_mul_lo_u32 v6, v6, s8
	v_mul_u32_u24_e32 v9, 0xd47, v9
	v_xor_b32_e32 v10, 0x7fffffff, v9
	v_sub_u32_e32 v15, 0, v9
	v_cmp_lt_u32_e32 vcc, v6, v9
	v_cndmask_b32_e32 v9, v15, v10, vcc
	v_add_u32_e32 v6, v9, v6
	v_mul_hi_u32 v10, v6, s7
	v_add_u32_e32 v9, -1, v6
	v_cvt_f32_u32_e32 v9, v9
	v_fma_f32 v7, v7, s9, 0
	v_lshrrev_b32_e32 v10, 15, v10
	v_mul_u32_u24_e32 v15, 0xadc8, v10
	v_fma_f32 v9, v9, s9, 0
	v_sub_u32_e32 v6, v6, v15
	v_mul_f32_e32 v9, v9, v9
	v_mul_lo_u32 v6, v6, s8
	v_fmac_f32_e32 v9, v7, v7
	v_mul_f32_e32 v7, 0x4f800000, v9
	v_cmp_gt_f32_e32 vcc, s14, v9
	v_mul_u32_u24_e32 v10, 0xd47, v10
	v_cndmask_b32_e32 v7, v9, v7, vcc
	v_xor_b32_e32 v15, 0x7fffffff, v10
	v_sub_u32_e32 v16, 0, v10
	v_sqrt_f32_e32 v9, v7
	v_cmp_lt_u32_e64 s[4:5], v6, v10
	v_cndmask_b32_e64 v10, v16, v15, s[4:5]
	v_add_u32_e32 v6, v10, v6
	v_mul_hi_u32 v15, v6, s7
	v_add_u32_e32 v16, -1, v9
	v_add_u32_e32 v17, 1, v9
	v_fma_f32 v18, -v16, v9, v7
	v_fma_f32 v19, -v17, v9, v7
	v_cmp_ge_f32_e64 s[4:5], 0, v18
	v_cndmask_b32_e64 v9, v9, v16, s[4:5]
	v_cmp_lt_f32_e64 s[4:5], 0, v19
	v_lshrrev_b32_e32 v15, 15, v15
	v_cndmask_b32_e64 v9, v9, v17, s[4:5]
	v_mul_u32_u24_e32 v17, 0xadc8, v15
	v_add_u32_e32 v10, -1, v6
	v_sub_u32_e32 v6, v6, v17
	v_mul_f32_e32 v16, 0x37800000, v9
	v_mul_lo_u32 v6, v6, s8
	v_cndmask_b32_e32 v9, v9, v16, vcc
	v_cmp_class_f32_e32 vcc, v7, v5
	v_cndmask_b32_e32 v7, v9, v7, vcc
	v_mul_u32_u24_e32 v15, 0xd47, v15
	v_cmp_nge_f32_e32 vcc, 1.0, v7
	v_xor_b32_e32 v16, 0x7fffffff, v15
	v_sub_u32_e32 v17, 0, v15
	v_cndmask_b32_e32 v7, v8, v14, vcc
	v_cmp_lt_u32_e32 vcc, v6, v15
	v_cndmask_b32_e32 v9, v17, v16, vcc
	v_add_u32_e32 v6, v9, v6
	v_add_u32_e32 v9, -1, v6
	v_cvt_f32_u32_e32 v9, v9
	v_cvt_f32_u32_e32 v10, v10
	v_add_f32_e32 v8, 1.0, v7
	v_fma_f32 v9, v9, s9, 0
	v_fma_f32 v10, v10, s9, 0
	v_mul_f32_e32 v9, v9, v9
	v_fmac_f32_e32 v9, v10, v10
	v_mul_f32_e32 v10, 0x4f800000, v9
	v_cmp_gt_f32_e32 vcc, s14, v9
	v_cndmask_b32_e32 v9, v9, v10, vcc
	v_sqrt_f32_e32 v10, v9
	v_add_u32_e32 v14, -1, v10
	v_add_u32_e32 v15, 1, v10
	v_fma_f32 v16, -v14, v10, v9
	v_fma_f32 v17, -v15, v10, v9
	v_cmp_ge_f32_e64 s[4:5], 0, v16
	v_cndmask_b32_e64 v10, v10, v14, s[4:5]
	v_cmp_lt_f32_e64 s[4:5], 0, v17
	v_cndmask_b32_e64 v10, v10, v15, s[4:5]
	v_mul_f32_e32 v14, 0x37800000, v10
	v_cndmask_b32_e32 v10, v10, v14, vcc
	v_cmp_class_f32_e32 vcc, v9, v5
	v_cndmask_b32_e32 v9, v10, v9, vcc
	v_cmp_nge_f32_e32 vcc, 1.0, v9
	v_cndmask_b32_e32 v14, v8, v7, vcc
	s_cbranch_scc1 .LBB31_155
; %bb.156:
	v_add_u32_e32 v5, 0x271000, v4
	v_cmp_ne_u32_e32 vcc, 0, v5
	v_mov_b32_e32 v6, 1
	s_and_saveexec_b64 s[4:5], vcc
	s_cbranch_execz .LBB31_186
; %bb.157:
	v_mov_b32_e32 v6, 0
	v_mov_b32_e32 v9, 1
	;; [unrolled: 1-line block ×3, first 2 shown]
	s_mov_b64 s[8:9], 0xbc8f
	v_mov_b32_e32 v10, 0
	s_mov_b64 s[6:7], 0
	s_brev_b32 s17, -2
	v_mov_b32_e32 v7, v5
	s_branch .LBB31_159
.LBB31_158:                             ;   in Loop: Header=BB31_159 Depth=1
	s_or_b64 exec, exec, s[14:15]
	s_mul_i32 s9, s8, s9
	s_mul_hi_u32 s14, s8, s8
	s_add_i32 s14, s14, s9
	s_add_i32 s14, s14, s9
	s_mul_i32 s15, s8, s8
	s_mul_i32 s9, s14, 3
	s_mul_hi_u32 s18, s15, 3
	s_mul_hi_u32 s8, s14, 3
	s_add_u32 s9, s9, s18
	s_addc_u32 s8, s8, 0
	s_mul_i32 s19, s15, 0x80000001
	s_mul_hi_u32 s18, s15, 0x80000001
	s_add_u32 s9, s19, s9
	s_addc_u32 s9, s18, 0
	s_add_u32 s8, s8, s9
	s_addc_u32 s9, 0, 0
	s_mul_i32 s19, s14, 0x80000001
	s_mul_hi_u32 s18, s14, 0x80000001
	s_add_u32 s8, s19, s8
	s_addc_u32 s9, s18, s9
	s_lshr_b32 s18, s9, 30
	s_lshr_b64 s[8:9], s[8:9], 30
	s_mul_i32 s18, s18, 0x7fffffff
	s_mul_hi_u32 s9, s8, 0x7fffffff
	v_lshrrev_b64 v[15:16], 1, v[7:8]
	s_add_i32 s9, s9, s18
	s_mul_i32 s8, s8, 0x7fffffff
	s_sub_u32 s8, s15, s8
	v_cmp_gt_u64_e32 vcc, 2, v[7:8]
	s_subb_u32 s9, s14, s9
	v_mov_b32_e32 v7, v15
	s_or_b64 s[6:7], vcc, s[6:7]
	v_mov_b32_e32 v8, v16
	s_andn2_b64 exec, exec, s[6:7]
	s_cbranch_execz .LBB31_185
.LBB31_159:                             ; =>This Inner Loop Header: Depth=1
	v_and_b32_e32 v5, 1, v7
	v_cmp_eq_u32_e32 vcc, 1, v5
	s_and_saveexec_b64 s[14:15], vcc
	s_cbranch_execz .LBB31_158
; %bb.160:                              ;   in Loop: Header=BB31_159 Depth=1
	v_mad_u64_u32 v[15:16], s[18:19], s8, v9, 0
	v_mul_lo_u32 v9, s9, v9
	v_mul_lo_u32 v10, s8, v10
	v_mul_hi_u32 v5, v15, 5
	v_add3_u32 v18, v16, v10, v9
	v_mad_u64_u32 v[9:10], s[18:19], v18, 5, v[5:6]
	v_mov_b32_e32 v5, v9
	v_mad_u64_u32 v[16:17], s[18:19], v15, 2, v[5:6]
	v_add_co_u32_e32 v9, vcc, v10, v17
	v_addc_co_u32_e64 v10, s[18:19], 0, 0, vcc
	v_mad_u64_u32 v[9:10], s[18:19], v18, 2, v[9:10]
	v_sub_co_u32_e32 v16, vcc, v15, v9
	v_subb_co_u32_e32 v17, vcc, v18, v10, vcc
	v_lshrrev_b64 v[16:17], 1, v[16:17]
	v_add_co_u32_e32 v5, vcc, v16, v9
	v_addc_co_u32_e32 v16, vcc, v17, v10, vcc
	v_alignbit_b32 v5, v16, v5, 30
	v_mad_u64_u32 v[9:10], s[18:19], v5, s17, 0
	v_lshrrev_b32_e32 v16, 30, v16
	v_mov_b32_e32 v5, v10
	v_mad_u64_u32 v[16:17], s[18:19], v16, s17, v[5:6]
	v_sub_co_u32_e32 v9, vcc, v15, v9
	v_subb_co_u32_e32 v10, vcc, v18, v16, vcc
	s_branch .LBB31_158
.LBB31_161:
	s_or_b64 exec, exec, s[6:7]
	v_add_u32_e32 v7, 0x80000001, v11
	v_min_u32_e32 v7, v7, v11
	v_add_u32_e32 v8, 0x80000001, v7
	v_min_u32_e32 v8, v8, v7
.LBB31_162:
	s_or_b64 exec, exec, s[4:5]
	v_mov_b32_e32 v12, 0
	s_movk_i32 s6, 0x1388
	s_mov_b32 s7, 0xbc8f1391
	s_mov_b32 s8, 0xbc8f
	s_brev_b32 s9, 12
	s_mov_b32 s16, 0xf800000
	v_mov_b32_e32 v7, 0x260
.LBB31_163:                             ; =>This Inner Loop Header: Depth=1
	v_mul_hi_u32 v9, v8, s7
	v_add_f32_e32 v10, 1.0, v12
	s_add_i32 s6, s6, -2
	s_cmp_lg_u32 s6, 0
	v_lshrrev_b32_e32 v9, 15, v9
	v_mul_u32_u24_e32 v11, 0xadc8, v9
	v_sub_u32_e32 v8, v8, v11
	v_mul_lo_u32 v8, v8, s8
	v_mul_u32_u24_e32 v9, 0xd47, v9
	v_xor_b32_e32 v11, 0x7fffffff, v9
	v_sub_u32_e32 v17, 0, v9
	v_cmp_lt_u32_e32 vcc, v8, v9
	v_cndmask_b32_e32 v9, v17, v11, vcc
	v_add_u32_e32 v8, v9, v8
	v_mul_hi_u32 v11, v8, s7
	v_add_u32_e32 v9, -1, v8
	v_cvt_f32_u32_e32 v9, v9
	v_lshrrev_b32_e32 v11, 15, v11
	v_mul_u32_u24_e32 v17, 0xadc8, v11
	v_sub_u32_e32 v8, v8, v17
	v_mul_lo_u32 v8, v8, s8
	v_mul_u32_u24_e32 v11, 0xd47, v11
	v_xor_b32_e32 v17, 0x7fffffff, v11
	v_sub_u32_e32 v18, 0, v11
	v_cmp_lt_u32_e32 vcc, v8, v11
	v_cndmask_b32_e32 v11, v18, v17, vcc
	v_add_u32_e32 v8, v11, v8
	v_mul_hi_u32 v17, v8, s7
	v_add_u32_e32 v11, -1, v8
	v_cvt_f32_u32_e32 v11, v11
	v_fma_f32 v9, v9, s9, 0
	v_lshrrev_b32_e32 v17, 15, v17
	v_mul_u32_u24_e32 v18, 0xadc8, v17
	v_fma_f32 v11, v11, s9, 0
	v_sub_u32_e32 v8, v8, v18
	v_mul_f32_e32 v11, v11, v11
	v_mul_lo_u32 v8, v8, s8
	v_fmac_f32_e32 v11, v9, v9
	v_mul_f32_e32 v9, 0x4f800000, v11
	v_cmp_gt_f32_e32 vcc, s16, v11
	v_mul_u32_u24_e32 v17, 0xd47, v17
	v_cndmask_b32_e32 v9, v11, v9, vcc
	v_xor_b32_e32 v18, 0x7fffffff, v17
	v_sub_u32_e32 v19, 0, v17
	v_sqrt_f32_e32 v11, v9
	v_cmp_lt_u32_e64 s[4:5], v8, v17
	v_cndmask_b32_e64 v17, v19, v18, s[4:5]
	v_add_u32_e32 v8, v17, v8
	v_mul_hi_u32 v18, v8, s7
	v_add_u32_e32 v19, -1, v11
	v_add_u32_e32 v20, 1, v11
	v_fma_f32 v21, -v19, v11, v9
	v_fma_f32 v22, -v20, v11, v9
	v_cmp_ge_f32_e64 s[4:5], 0, v21
	v_cndmask_b32_e64 v11, v11, v19, s[4:5]
	v_cmp_lt_f32_e64 s[4:5], 0, v22
	v_lshrrev_b32_e32 v18, 15, v18
	v_cndmask_b32_e64 v11, v11, v20, s[4:5]
	v_mul_u32_u24_e32 v20, 0xadc8, v18
	v_add_u32_e32 v17, -1, v8
	v_sub_u32_e32 v8, v8, v20
	v_mul_f32_e32 v19, 0x37800000, v11
	v_mul_lo_u32 v8, v8, s8
	v_cndmask_b32_e32 v11, v11, v19, vcc
	v_cmp_class_f32_e32 vcc, v9, v7
	v_cndmask_b32_e32 v9, v11, v9, vcc
	v_mul_u32_u24_e32 v18, 0xd47, v18
	v_cmp_nge_f32_e32 vcc, 1.0, v9
	v_xor_b32_e32 v19, 0x7fffffff, v18
	v_sub_u32_e32 v20, 0, v18
	v_cndmask_b32_e32 v9, v10, v12, vcc
	v_cmp_lt_u32_e32 vcc, v8, v18
	v_cndmask_b32_e32 v11, v20, v19, vcc
	v_add_u32_e32 v8, v11, v8
	v_add_u32_e32 v11, -1, v8
	v_cvt_f32_u32_e32 v11, v11
	v_cvt_f32_u32_e32 v17, v17
	v_add_f32_e32 v10, 1.0, v9
	v_fma_f32 v11, v11, s9, 0
	v_fma_f32 v17, v17, s9, 0
	v_mul_f32_e32 v11, v11, v11
	v_fmac_f32_e32 v11, v17, v17
	v_mul_f32_e32 v12, 0x4f800000, v11
	v_cmp_gt_f32_e32 vcc, s16, v11
	v_cndmask_b32_e32 v11, v11, v12, vcc
	v_sqrt_f32_e32 v12, v11
	v_add_u32_e32 v17, -1, v12
	v_add_u32_e32 v18, 1, v12
	v_fma_f32 v19, -v17, v12, v11
	v_fma_f32 v20, -v18, v12, v11
	v_cmp_ge_f32_e64 s[4:5], 0, v19
	v_cndmask_b32_e64 v12, v12, v17, s[4:5]
	v_cmp_lt_f32_e64 s[4:5], 0, v20
	v_cndmask_b32_e64 v12, v12, v18, s[4:5]
	v_mul_f32_e32 v17, 0x37800000, v12
	v_cndmask_b32_e32 v12, v12, v17, vcc
	v_cmp_class_f32_e32 vcc, v11, v7
	v_cndmask_b32_e32 v11, v12, v11, vcc
	v_cmp_nge_f32_e32 vcc, 1.0, v11
	v_cndmask_b32_e32 v12, v10, v9, vcc
	s_cbranch_scc1 .LBB31_163
; %bb.164:
	v_add_u32_e32 v6, 0x3a9800, v6
	v_cmp_ne_u32_e32 vcc, 0, v6
	v_mov_b32_e32 v8, 1
	s_and_saveexec_b64 s[4:5], vcc
	s_cbranch_execz .LBB31_194
; %bb.165:
	v_mov_b32_e32 v7, 0
	v_mov_b32_e32 v10, 1
	;; [unrolled: 1-line block ×3, first 2 shown]
	s_mov_b64 s[8:9], 0xbc8f
	v_mov_b32_e32 v11, 0
	s_mov_b64 s[6:7], 0
	s_brev_b32 s19, -2
	v_mov_b32_e32 v8, v6
	s_branch .LBB31_167
.LBB31_166:                             ;   in Loop: Header=BB31_167 Depth=1
	s_or_b64 exec, exec, s[16:17]
	s_mul_i32 s9, s8, s9
	s_mul_hi_u32 s16, s8, s8
	s_add_i32 s16, s16, s9
	s_add_i32 s16, s16, s9
	s_mul_i32 s17, s8, s8
	s_mul_i32 s9, s16, 3
	s_mul_hi_u32 s20, s17, 3
	s_mul_hi_u32 s8, s16, 3
	s_add_u32 s9, s9, s20
	s_addc_u32 s8, s8, 0
	s_mul_i32 s21, s17, 0x80000001
	s_mul_hi_u32 s20, s17, 0x80000001
	s_add_u32 s9, s21, s9
	s_addc_u32 s9, s20, 0
	s_add_u32 s8, s8, s9
	s_addc_u32 s9, 0, 0
	s_mul_i32 s21, s16, 0x80000001
	s_mul_hi_u32 s20, s16, 0x80000001
	s_add_u32 s8, s21, s8
	s_addc_u32 s9, s20, s9
	s_lshr_b32 s20, s9, 30
	s_lshr_b64 s[8:9], s[8:9], 30
	s_mul_i32 s20, s20, 0x7fffffff
	s_mul_hi_u32 s9, s8, 0x7fffffff
	v_lshrrev_b64 v[17:18], 1, v[8:9]
	s_add_i32 s9, s9, s20
	s_mul_i32 s8, s8, 0x7fffffff
	s_sub_u32 s8, s17, s8
	v_cmp_gt_u64_e32 vcc, 2, v[8:9]
	s_subb_u32 s9, s16, s9
	v_mov_b32_e32 v8, v17
	s_or_b64 s[6:7], vcc, s[6:7]
	v_mov_b32_e32 v9, v18
	s_andn2_b64 exec, exec, s[6:7]
	s_cbranch_execz .LBB31_193
.LBB31_167:                             ; =>This Inner Loop Header: Depth=1
	v_and_b32_e32 v6, 1, v8
	v_cmp_eq_u32_e32 vcc, 1, v6
	s_and_saveexec_b64 s[16:17], vcc
	s_cbranch_execz .LBB31_166
; %bb.168:                              ;   in Loop: Header=BB31_167 Depth=1
	v_mad_u64_u32 v[17:18], s[20:21], s8, v10, 0
	v_mul_lo_u32 v10, s9, v10
	v_mul_lo_u32 v11, s8, v11
	v_mul_hi_u32 v6, v17, 5
	v_add3_u32 v20, v18, v11, v10
	v_mad_u64_u32 v[10:11], s[20:21], v20, 5, v[6:7]
	v_mov_b32_e32 v6, v10
	v_mad_u64_u32 v[18:19], s[20:21], v17, 2, v[6:7]
	v_add_co_u32_e32 v10, vcc, v11, v19
	v_addc_co_u32_e64 v11, s[20:21], 0, 0, vcc
	v_mad_u64_u32 v[10:11], s[20:21], v20, 2, v[10:11]
	v_sub_co_u32_e32 v18, vcc, v17, v10
	v_subb_co_u32_e32 v19, vcc, v20, v11, vcc
	v_lshrrev_b64 v[18:19], 1, v[18:19]
	v_add_co_u32_e32 v6, vcc, v18, v10
	v_addc_co_u32_e32 v18, vcc, v19, v11, vcc
	v_alignbit_b32 v6, v18, v6, 30
	v_mad_u64_u32 v[10:11], s[20:21], v6, s19, 0
	v_lshrrev_b32_e32 v18, 30, v18
	v_mov_b32_e32 v6, v11
	v_mad_u64_u32 v[18:19], s[20:21], v18, s19, v[6:7]
	v_sub_co_u32_e32 v10, vcc, v17, v10
	v_subb_co_u32_e32 v11, vcc, v20, v18, vcc
	s_branch .LBB31_166
.LBB31_169:
	s_or_b64 exec, exec, s[6:7]
	v_add_u32_e32 v7, 0x80000001, v11
	v_min_u32_e32 v7, v7, v11
	v_add_u32_e32 v8, 0x80000001, v7
	v_min_u32_e32 v8, v8, v7
.LBB31_170:
	s_or_b64 exec, exec, s[4:5]
	v_mov_b32_e32 v17, 0
	s_movk_i32 s6, 0x1388
	s_mov_b32 s7, 0xbc8f1391
	s_mov_b32 s8, 0xbc8f
	s_brev_b32 s9, 12
	s_mov_b32 s14, 0xf800000
	v_mov_b32_e32 v7, 0x260
.LBB31_171:                             ; =>This Inner Loop Header: Depth=1
	v_mul_hi_u32 v9, v8, s7
	v_add_f32_e32 v10, 1.0, v17
	s_add_i32 s6, s6, -2
	s_cmp_lg_u32 s6, 0
	v_lshrrev_b32_e32 v9, 15, v9
	v_mul_u32_u24_e32 v11, 0xadc8, v9
	v_sub_u32_e32 v8, v8, v11
	v_mul_lo_u32 v8, v8, s8
	v_mul_u32_u24_e32 v9, 0xd47, v9
	v_xor_b32_e32 v11, 0x7fffffff, v9
	v_sub_u32_e32 v12, 0, v9
	v_cmp_lt_u32_e32 vcc, v8, v9
	v_cndmask_b32_e32 v9, v12, v11, vcc
	v_add_u32_e32 v8, v9, v8
	v_mul_hi_u32 v11, v8, s7
	v_add_u32_e32 v9, -1, v8
	v_cvt_f32_u32_e32 v9, v9
	v_lshrrev_b32_e32 v11, 15, v11
	v_mul_u32_u24_e32 v12, 0xadc8, v11
	v_sub_u32_e32 v8, v8, v12
	v_mul_lo_u32 v8, v8, s8
	v_mul_u32_u24_e32 v11, 0xd47, v11
	v_xor_b32_e32 v12, 0x7fffffff, v11
	v_sub_u32_e32 v18, 0, v11
	v_cmp_lt_u32_e32 vcc, v8, v11
	v_cndmask_b32_e32 v11, v18, v12, vcc
	v_add_u32_e32 v8, v11, v8
	v_mul_hi_u32 v12, v8, s7
	v_add_u32_e32 v11, -1, v8
	v_cvt_f32_u32_e32 v11, v11
	v_fma_f32 v9, v9, s9, 0
	v_lshrrev_b32_e32 v12, 15, v12
	v_mul_u32_u24_e32 v18, 0xadc8, v12
	v_fma_f32 v11, v11, s9, 0
	v_sub_u32_e32 v8, v8, v18
	v_mul_f32_e32 v11, v11, v11
	v_mul_lo_u32 v8, v8, s8
	v_fmac_f32_e32 v11, v9, v9
	v_mul_f32_e32 v9, 0x4f800000, v11
	v_cmp_gt_f32_e32 vcc, s14, v11
	v_mul_u32_u24_e32 v12, 0xd47, v12
	v_cndmask_b32_e32 v9, v11, v9, vcc
	v_xor_b32_e32 v18, 0x7fffffff, v12
	v_sub_u32_e32 v19, 0, v12
	v_sqrt_f32_e32 v11, v9
	v_cmp_lt_u32_e64 s[4:5], v8, v12
	v_cndmask_b32_e64 v12, v19, v18, s[4:5]
	v_add_u32_e32 v8, v12, v8
	v_mul_hi_u32 v18, v8, s7
	v_add_u32_e32 v19, -1, v11
	v_add_u32_e32 v20, 1, v11
	v_fma_f32 v21, -v19, v11, v9
	v_fma_f32 v22, -v20, v11, v9
	v_cmp_ge_f32_e64 s[4:5], 0, v21
	v_cndmask_b32_e64 v11, v11, v19, s[4:5]
	v_cmp_lt_f32_e64 s[4:5], 0, v22
	v_lshrrev_b32_e32 v18, 15, v18
	v_cndmask_b32_e64 v11, v11, v20, s[4:5]
	v_mul_u32_u24_e32 v20, 0xadc8, v18
	v_add_u32_e32 v12, -1, v8
	v_sub_u32_e32 v8, v8, v20
	v_mul_f32_e32 v19, 0x37800000, v11
	v_mul_lo_u32 v8, v8, s8
	v_cndmask_b32_e32 v11, v11, v19, vcc
	v_cmp_class_f32_e32 vcc, v9, v7
	v_cndmask_b32_e32 v9, v11, v9, vcc
	v_mul_u32_u24_e32 v18, 0xd47, v18
	v_cmp_nge_f32_e32 vcc, 1.0, v9
	v_xor_b32_e32 v19, 0x7fffffff, v18
	v_sub_u32_e32 v20, 0, v18
	v_cndmask_b32_e32 v9, v10, v17, vcc
	v_cmp_lt_u32_e32 vcc, v8, v18
	v_cndmask_b32_e32 v11, v20, v19, vcc
	v_add_u32_e32 v8, v11, v8
	v_add_u32_e32 v11, -1, v8
	v_cvt_f32_u32_e32 v11, v11
	v_cvt_f32_u32_e32 v12, v12
	v_add_f32_e32 v10, 1.0, v9
	v_fma_f32 v11, v11, s9, 0
	v_fma_f32 v12, v12, s9, 0
	v_mul_f32_e32 v11, v11, v11
	v_fmac_f32_e32 v11, v12, v12
	v_mul_f32_e32 v12, 0x4f800000, v11
	v_cmp_gt_f32_e32 vcc, s14, v11
	v_cndmask_b32_e32 v11, v11, v12, vcc
	v_sqrt_f32_e32 v12, v11
	v_add_u32_e32 v17, -1, v12
	v_add_u32_e32 v18, 1, v12
	v_fma_f32 v19, -v17, v12, v11
	v_fma_f32 v20, -v18, v12, v11
	v_cmp_ge_f32_e64 s[4:5], 0, v19
	v_cndmask_b32_e64 v12, v12, v17, s[4:5]
	v_cmp_lt_f32_e64 s[4:5], 0, v20
	v_cndmask_b32_e64 v12, v12, v18, s[4:5]
	v_mul_f32_e32 v17, 0x37800000, v12
	v_cndmask_b32_e32 v12, v12, v17, vcc
	v_cmp_class_f32_e32 vcc, v11, v7
	v_cndmask_b32_e32 v11, v12, v11, vcc
	v_cmp_nge_f32_e32 vcc, 1.0, v11
	v_cndmask_b32_e32 v17, v10, v9, vcc
	s_cbranch_scc1 .LBB31_171
; %bb.172:
	v_add_u32_e32 v7, 0x3a9800, v6
	v_cmp_ne_u32_e32 vcc, 0, v7
	v_mov_b32_e32 v8, 1
	s_and_saveexec_b64 s[4:5], vcc
	s_cbranch_execz .LBB31_208
; %bb.173:
	v_mov_b32_e32 v8, 0
	v_mov_b32_e32 v11, 1
	;; [unrolled: 1-line block ×3, first 2 shown]
	s_mov_b64 s[8:9], 0xbc8f
	v_mov_b32_e32 v12, 0
	s_mov_b64 s[6:7], 0
	s_brev_b32 s17, -2
	v_mov_b32_e32 v9, v7
	s_branch .LBB31_175
.LBB31_174:                             ;   in Loop: Header=BB31_175 Depth=1
	s_or_b64 exec, exec, s[14:15]
	s_mul_i32 s9, s8, s9
	s_mul_hi_u32 s14, s8, s8
	s_add_i32 s14, s14, s9
	s_add_i32 s14, s14, s9
	s_mul_i32 s15, s8, s8
	s_mul_i32 s9, s14, 3
	s_mul_hi_u32 s18, s15, 3
	s_mul_hi_u32 s8, s14, 3
	s_add_u32 s9, s9, s18
	s_addc_u32 s8, s8, 0
	s_mul_i32 s19, s15, 0x80000001
	s_mul_hi_u32 s18, s15, 0x80000001
	s_add_u32 s9, s19, s9
	s_addc_u32 s9, s18, 0
	s_add_u32 s8, s8, s9
	s_addc_u32 s9, 0, 0
	s_mul_i32 s19, s14, 0x80000001
	s_mul_hi_u32 s18, s14, 0x80000001
	s_add_u32 s8, s19, s8
	s_addc_u32 s9, s18, s9
	s_lshr_b32 s18, s9, 30
	s_lshr_b64 s[8:9], s[8:9], 30
	s_mul_i32 s18, s18, 0x7fffffff
	s_mul_hi_u32 s9, s8, 0x7fffffff
	v_lshrrev_b64 v[18:19], 1, v[9:10]
	s_add_i32 s9, s9, s18
	s_mul_i32 s8, s8, 0x7fffffff
	s_sub_u32 s8, s15, s8
	v_cmp_gt_u64_e32 vcc, 2, v[9:10]
	s_subb_u32 s9, s14, s9
	v_mov_b32_e32 v9, v18
	s_or_b64 s[6:7], vcc, s[6:7]
	v_mov_b32_e32 v10, v19
	s_andn2_b64 exec, exec, s[6:7]
	s_cbranch_execz .LBB31_207
.LBB31_175:                             ; =>This Inner Loop Header: Depth=1
	v_and_b32_e32 v7, 1, v9
	v_cmp_eq_u32_e32 vcc, 1, v7
	s_and_saveexec_b64 s[14:15], vcc
	s_cbranch_execz .LBB31_174
; %bb.176:                              ;   in Loop: Header=BB31_175 Depth=1
	v_mad_u64_u32 v[18:19], s[18:19], s8, v11, 0
	v_mul_lo_u32 v11, s9, v11
	v_mul_lo_u32 v12, s8, v12
	v_mul_hi_u32 v7, v18, 5
	v_add3_u32 v21, v19, v12, v11
	v_mad_u64_u32 v[11:12], s[18:19], v21, 5, v[7:8]
	v_mov_b32_e32 v7, v11
	v_mad_u64_u32 v[19:20], s[18:19], v18, 2, v[7:8]
	v_add_co_u32_e32 v11, vcc, v12, v20
	v_addc_co_u32_e64 v12, s[18:19], 0, 0, vcc
	v_mad_u64_u32 v[11:12], s[18:19], v21, 2, v[11:12]
	v_sub_co_u32_e32 v19, vcc, v18, v11
	v_subb_co_u32_e32 v20, vcc, v21, v12, vcc
	v_lshrrev_b64 v[19:20], 1, v[19:20]
	v_add_co_u32_e32 v7, vcc, v19, v11
	v_addc_co_u32_e32 v19, vcc, v20, v12, vcc
	v_alignbit_b32 v7, v19, v7, 30
	v_mad_u64_u32 v[11:12], s[18:19], v7, s17, 0
	v_lshrrev_b32_e32 v19, 30, v19
	v_mov_b32_e32 v7, v12
	v_mad_u64_u32 v[19:20], s[18:19], v19, s17, v[7:8]
	v_sub_co_u32_e32 v11, vcc, v18, v11
	v_subb_co_u32_e32 v12, vcc, v21, v19, vcc
	s_branch .LBB31_174
.LBB31_177:
	s_or_b64 exec, exec, s[6:7]
	v_add_u32_e32 v7, 0x80000001, v11
	v_min_u32_e32 v7, v7, v11
	v_add_u32_e32 v8, 0x80000001, v7
	v_min_u32_e32 v8, v8, v7
.LBB31_178:
	s_or_b64 exec, exec, s[4:5]
	v_mov_b32_e32 v17, 0
	s_movk_i32 s6, 0x1388
	s_mov_b32 s7, 0xbc8f1391
	s_mov_b32 s8, 0xbc8f
	s_brev_b32 s9, 12
	s_mov_b32 s14, 0xf800000
	v_mov_b32_e32 v7, 0x260
.LBB31_179:                             ; =>This Inner Loop Header: Depth=1
	v_mul_hi_u32 v9, v8, s7
	v_add_f32_e32 v10, 1.0, v17
	s_add_i32 s6, s6, -2
	s_cmp_lg_u32 s6, 0
	v_lshrrev_b32_e32 v9, 15, v9
	v_mul_u32_u24_e32 v11, 0xadc8, v9
	v_sub_u32_e32 v8, v8, v11
	v_mul_lo_u32 v8, v8, s8
	v_mul_u32_u24_e32 v9, 0xd47, v9
	v_xor_b32_e32 v11, 0x7fffffff, v9
	v_sub_u32_e32 v12, 0, v9
	v_cmp_lt_u32_e32 vcc, v8, v9
	v_cndmask_b32_e32 v9, v12, v11, vcc
	v_add_u32_e32 v8, v9, v8
	v_mul_hi_u32 v11, v8, s7
	v_add_u32_e32 v9, -1, v8
	v_cvt_f32_u32_e32 v9, v9
	v_lshrrev_b32_e32 v11, 15, v11
	v_mul_u32_u24_e32 v12, 0xadc8, v11
	v_sub_u32_e32 v8, v8, v12
	v_mul_lo_u32 v8, v8, s8
	v_mul_u32_u24_e32 v11, 0xd47, v11
	v_xor_b32_e32 v12, 0x7fffffff, v11
	v_sub_u32_e32 v18, 0, v11
	v_cmp_lt_u32_e32 vcc, v8, v11
	v_cndmask_b32_e32 v11, v18, v12, vcc
	v_add_u32_e32 v8, v11, v8
	v_mul_hi_u32 v12, v8, s7
	v_add_u32_e32 v11, -1, v8
	v_cvt_f32_u32_e32 v11, v11
	v_fma_f32 v9, v9, s9, 0
	v_lshrrev_b32_e32 v12, 15, v12
	v_mul_u32_u24_e32 v18, 0xadc8, v12
	v_fma_f32 v11, v11, s9, 0
	v_sub_u32_e32 v8, v8, v18
	v_mul_f32_e32 v11, v11, v11
	v_mul_lo_u32 v8, v8, s8
	v_fmac_f32_e32 v11, v9, v9
	v_mul_f32_e32 v9, 0x4f800000, v11
	v_cmp_gt_f32_e32 vcc, s14, v11
	v_mul_u32_u24_e32 v12, 0xd47, v12
	v_cndmask_b32_e32 v9, v11, v9, vcc
	v_xor_b32_e32 v18, 0x7fffffff, v12
	v_sub_u32_e32 v19, 0, v12
	v_sqrt_f32_e32 v11, v9
	v_cmp_lt_u32_e64 s[4:5], v8, v12
	v_cndmask_b32_e64 v12, v19, v18, s[4:5]
	v_add_u32_e32 v8, v12, v8
	v_mul_hi_u32 v18, v8, s7
	v_add_u32_e32 v19, -1, v11
	v_add_u32_e32 v20, 1, v11
	v_fma_f32 v21, -v19, v11, v9
	v_fma_f32 v22, -v20, v11, v9
	v_cmp_ge_f32_e64 s[4:5], 0, v21
	v_cndmask_b32_e64 v11, v11, v19, s[4:5]
	v_cmp_lt_f32_e64 s[4:5], 0, v22
	v_lshrrev_b32_e32 v18, 15, v18
	v_cndmask_b32_e64 v11, v11, v20, s[4:5]
	v_mul_u32_u24_e32 v20, 0xadc8, v18
	v_add_u32_e32 v12, -1, v8
	v_sub_u32_e32 v8, v8, v20
	v_mul_f32_e32 v19, 0x37800000, v11
	v_mul_lo_u32 v8, v8, s8
	v_cndmask_b32_e32 v11, v11, v19, vcc
	v_cmp_class_f32_e32 vcc, v9, v7
	v_cndmask_b32_e32 v9, v11, v9, vcc
	v_mul_u32_u24_e32 v18, 0xd47, v18
	v_cmp_nge_f32_e32 vcc, 1.0, v9
	v_xor_b32_e32 v19, 0x7fffffff, v18
	v_sub_u32_e32 v20, 0, v18
	v_cndmask_b32_e32 v9, v10, v17, vcc
	v_cmp_lt_u32_e32 vcc, v8, v18
	v_cndmask_b32_e32 v11, v20, v19, vcc
	v_add_u32_e32 v8, v11, v8
	v_add_u32_e32 v11, -1, v8
	v_cvt_f32_u32_e32 v11, v11
	v_cvt_f32_u32_e32 v12, v12
	v_add_f32_e32 v10, 1.0, v9
	v_fma_f32 v11, v11, s9, 0
	v_fma_f32 v12, v12, s9, 0
	v_mul_f32_e32 v11, v11, v11
	v_fmac_f32_e32 v11, v12, v12
	v_mul_f32_e32 v12, 0x4f800000, v11
	v_cmp_gt_f32_e32 vcc, s14, v11
	v_cndmask_b32_e32 v11, v11, v12, vcc
	v_sqrt_f32_e32 v12, v11
	v_add_u32_e32 v17, -1, v12
	v_add_u32_e32 v18, 1, v12
	v_fma_f32 v19, -v17, v12, v11
	v_fma_f32 v20, -v18, v12, v11
	v_cmp_ge_f32_e64 s[4:5], 0, v19
	v_cndmask_b32_e64 v12, v12, v17, s[4:5]
	v_cmp_lt_f32_e64 s[4:5], 0, v20
	v_cndmask_b32_e64 v12, v12, v18, s[4:5]
	v_mul_f32_e32 v17, 0x37800000, v12
	v_cndmask_b32_e32 v12, v12, v17, vcc
	v_cmp_class_f32_e32 vcc, v11, v7
	v_cndmask_b32_e32 v11, v12, v11, vcc
	v_cmp_nge_f32_e32 vcc, 1.0, v11
	v_cndmask_b32_e32 v17, v10, v9, vcc
	s_cbranch_scc1 .LBB31_179
; %bb.180:
	v_add_u32_e32 v7, 0x3a9800, v6
	v_cmp_ne_u32_e32 vcc, 0, v7
	v_mov_b32_e32 v8, 1
	s_and_saveexec_b64 s[4:5], vcc
	s_cbranch_execz .LBB31_216
; %bb.181:
	v_mov_b32_e32 v8, 0
	v_mov_b32_e32 v11, 1
	;; [unrolled: 1-line block ×3, first 2 shown]
	s_mov_b64 s[8:9], 0xbc8f
	v_mov_b32_e32 v12, 0
	s_mov_b64 s[6:7], 0
	s_brev_b32 s17, -2
	v_mov_b32_e32 v9, v7
	s_branch .LBB31_183
.LBB31_182:                             ;   in Loop: Header=BB31_183 Depth=1
	s_or_b64 exec, exec, s[14:15]
	s_mul_i32 s9, s8, s9
	s_mul_hi_u32 s14, s8, s8
	s_add_i32 s14, s14, s9
	s_add_i32 s14, s14, s9
	s_mul_i32 s15, s8, s8
	s_mul_i32 s9, s14, 3
	s_mul_hi_u32 s18, s15, 3
	s_mul_hi_u32 s8, s14, 3
	s_add_u32 s9, s9, s18
	s_addc_u32 s8, s8, 0
	s_mul_i32 s19, s15, 0x80000001
	s_mul_hi_u32 s18, s15, 0x80000001
	s_add_u32 s9, s19, s9
	s_addc_u32 s9, s18, 0
	s_add_u32 s8, s8, s9
	s_addc_u32 s9, 0, 0
	s_mul_i32 s19, s14, 0x80000001
	s_mul_hi_u32 s18, s14, 0x80000001
	s_add_u32 s8, s19, s8
	s_addc_u32 s9, s18, s9
	s_lshr_b32 s18, s9, 30
	s_lshr_b64 s[8:9], s[8:9], 30
	s_mul_i32 s18, s18, 0x7fffffff
	s_mul_hi_u32 s9, s8, 0x7fffffff
	v_lshrrev_b64 v[18:19], 1, v[9:10]
	s_add_i32 s9, s9, s18
	s_mul_i32 s8, s8, 0x7fffffff
	s_sub_u32 s8, s15, s8
	v_cmp_gt_u64_e32 vcc, 2, v[9:10]
	s_subb_u32 s9, s14, s9
	v_mov_b32_e32 v9, v18
	s_or_b64 s[6:7], vcc, s[6:7]
	v_mov_b32_e32 v10, v19
	s_andn2_b64 exec, exec, s[6:7]
	s_cbranch_execz .LBB31_215
.LBB31_183:                             ; =>This Inner Loop Header: Depth=1
	v_and_b32_e32 v7, 1, v9
	v_cmp_eq_u32_e32 vcc, 1, v7
	s_and_saveexec_b64 s[14:15], vcc
	s_cbranch_execz .LBB31_182
; %bb.184:                              ;   in Loop: Header=BB31_183 Depth=1
	v_mad_u64_u32 v[18:19], s[18:19], s8, v11, 0
	v_mul_lo_u32 v11, s9, v11
	v_mul_lo_u32 v12, s8, v12
	v_mul_hi_u32 v7, v18, 5
	v_add3_u32 v21, v19, v12, v11
	v_mad_u64_u32 v[11:12], s[18:19], v21, 5, v[7:8]
	v_mov_b32_e32 v7, v11
	v_mad_u64_u32 v[19:20], s[18:19], v18, 2, v[7:8]
	v_add_co_u32_e32 v11, vcc, v12, v20
	v_addc_co_u32_e64 v12, s[18:19], 0, 0, vcc
	v_mad_u64_u32 v[11:12], s[18:19], v21, 2, v[11:12]
	v_sub_co_u32_e32 v19, vcc, v18, v11
	v_subb_co_u32_e32 v20, vcc, v21, v12, vcc
	v_lshrrev_b64 v[19:20], 1, v[19:20]
	v_add_co_u32_e32 v7, vcc, v19, v11
	v_addc_co_u32_e32 v19, vcc, v20, v12, vcc
	v_alignbit_b32 v7, v19, v7, 30
	v_mad_u64_u32 v[11:12], s[18:19], v7, s17, 0
	v_lshrrev_b32_e32 v19, 30, v19
	v_mov_b32_e32 v7, v12
	v_mad_u64_u32 v[19:20], s[18:19], v19, s17, v[7:8]
	v_sub_co_u32_e32 v11, vcc, v18, v11
	v_subb_co_u32_e32 v12, vcc, v21, v19, vcc
	s_branch .LBB31_182
.LBB31_185:
	s_or_b64 exec, exec, s[6:7]
	v_add_u32_e32 v5, 0x80000001, v9
	v_min_u32_e32 v5, v5, v9
	v_add_u32_e32 v6, 0x80000001, v5
	v_min_u32_e32 v6, v6, v5
.LBB31_186:
	s_or_b64 exec, exec, s[4:5]
	v_mov_b32_e32 v15, 0
	s_movk_i32 s6, 0x1388
	s_mov_b32 s7, 0xbc8f1391
	s_mov_b32 s8, 0xbc8f
	s_brev_b32 s9, 12
	s_mov_b32 s14, 0xf800000
	v_mov_b32_e32 v5, 0x260
.LBB31_187:                             ; =>This Inner Loop Header: Depth=1
	v_mul_hi_u32 v7, v6, s7
	v_add_f32_e32 v8, 1.0, v15
	s_add_i32 s6, s6, -2
	s_cmp_lg_u32 s6, 0
	v_lshrrev_b32_e32 v7, 15, v7
	v_mul_u32_u24_e32 v9, 0xadc8, v7
	v_sub_u32_e32 v6, v6, v9
	v_mul_lo_u32 v6, v6, s8
	v_mul_u32_u24_e32 v7, 0xd47, v7
	v_xor_b32_e32 v9, 0x7fffffff, v7
	v_sub_u32_e32 v10, 0, v7
	v_cmp_lt_u32_e32 vcc, v6, v7
	v_cndmask_b32_e32 v7, v10, v9, vcc
	v_add_u32_e32 v6, v7, v6
	v_mul_hi_u32 v9, v6, s7
	v_add_u32_e32 v7, -1, v6
	v_cvt_f32_u32_e32 v7, v7
	v_lshrrev_b32_e32 v9, 15, v9
	v_mul_u32_u24_e32 v10, 0xadc8, v9
	v_sub_u32_e32 v6, v6, v10
	v_mul_lo_u32 v6, v6, s8
	v_mul_u32_u24_e32 v9, 0xd47, v9
	v_xor_b32_e32 v10, 0x7fffffff, v9
	v_sub_u32_e32 v16, 0, v9
	v_cmp_lt_u32_e32 vcc, v6, v9
	v_cndmask_b32_e32 v9, v16, v10, vcc
	v_add_u32_e32 v6, v9, v6
	v_mul_hi_u32 v10, v6, s7
	v_add_u32_e32 v9, -1, v6
	v_cvt_f32_u32_e32 v9, v9
	v_fma_f32 v7, v7, s9, 0
	v_lshrrev_b32_e32 v10, 15, v10
	v_mul_u32_u24_e32 v16, 0xadc8, v10
	v_fma_f32 v9, v9, s9, 0
	v_sub_u32_e32 v6, v6, v16
	v_mul_f32_e32 v9, v9, v9
	v_mul_lo_u32 v6, v6, s8
	v_fmac_f32_e32 v9, v7, v7
	v_mul_f32_e32 v7, 0x4f800000, v9
	v_cmp_gt_f32_e32 vcc, s14, v9
	v_mul_u32_u24_e32 v10, 0xd47, v10
	v_cndmask_b32_e32 v7, v9, v7, vcc
	v_xor_b32_e32 v16, 0x7fffffff, v10
	v_sub_u32_e32 v17, 0, v10
	v_sqrt_f32_e32 v9, v7
	v_cmp_lt_u32_e64 s[4:5], v6, v10
	v_cndmask_b32_e64 v10, v17, v16, s[4:5]
	v_add_u32_e32 v6, v10, v6
	v_mul_hi_u32 v16, v6, s7
	v_add_u32_e32 v17, -1, v9
	v_add_u32_e32 v18, 1, v9
	v_fma_f32 v19, -v17, v9, v7
	v_fma_f32 v20, -v18, v9, v7
	v_cmp_ge_f32_e64 s[4:5], 0, v19
	v_cndmask_b32_e64 v9, v9, v17, s[4:5]
	v_cmp_lt_f32_e64 s[4:5], 0, v20
	v_lshrrev_b32_e32 v16, 15, v16
	v_cndmask_b32_e64 v9, v9, v18, s[4:5]
	v_mul_u32_u24_e32 v18, 0xadc8, v16
	v_add_u32_e32 v10, -1, v6
	v_sub_u32_e32 v6, v6, v18
	v_mul_f32_e32 v17, 0x37800000, v9
	v_mul_lo_u32 v6, v6, s8
	v_cndmask_b32_e32 v9, v9, v17, vcc
	v_cmp_class_f32_e32 vcc, v7, v5
	v_cndmask_b32_e32 v7, v9, v7, vcc
	v_mul_u32_u24_e32 v16, 0xd47, v16
	v_cmp_nge_f32_e32 vcc, 1.0, v7
	v_xor_b32_e32 v17, 0x7fffffff, v16
	v_sub_u32_e32 v18, 0, v16
	v_cndmask_b32_e32 v7, v8, v15, vcc
	v_cmp_lt_u32_e32 vcc, v6, v16
	v_cndmask_b32_e32 v9, v18, v17, vcc
	v_add_u32_e32 v6, v9, v6
	v_add_u32_e32 v9, -1, v6
	v_cvt_f32_u32_e32 v9, v9
	v_cvt_f32_u32_e32 v10, v10
	v_add_f32_e32 v8, 1.0, v7
	v_fma_f32 v9, v9, s9, 0
	v_fma_f32 v10, v10, s9, 0
	v_mul_f32_e32 v9, v9, v9
	v_fmac_f32_e32 v9, v10, v10
	v_mul_f32_e32 v10, 0x4f800000, v9
	v_cmp_gt_f32_e32 vcc, s14, v9
	v_cndmask_b32_e32 v9, v9, v10, vcc
	v_sqrt_f32_e32 v10, v9
	v_add_u32_e32 v15, -1, v10
	v_add_u32_e32 v16, 1, v10
	v_fma_f32 v17, -v15, v10, v9
	v_fma_f32 v18, -v16, v10, v9
	v_cmp_ge_f32_e64 s[4:5], 0, v17
	v_cndmask_b32_e64 v10, v10, v15, s[4:5]
	v_cmp_lt_f32_e64 s[4:5], 0, v18
	v_cndmask_b32_e64 v10, v10, v16, s[4:5]
	v_mul_f32_e32 v15, 0x37800000, v10
	v_cndmask_b32_e32 v10, v10, v15, vcc
	v_cmp_class_f32_e32 vcc, v9, v5
	v_cndmask_b32_e32 v9, v10, v9, vcc
	v_cmp_nge_f32_e32 vcc, 1.0, v9
	v_cndmask_b32_e32 v15, v8, v7, vcc
	s_cbranch_scc1 .LBB31_187
; %bb.188:
	v_add_u32_e32 v5, 0x3a9800, v4
	v_cmp_ne_u32_e32 vcc, 0, v5
	v_mov_b32_e32 v6, 1
	s_and_saveexec_b64 s[4:5], vcc
	s_cbranch_execz .LBB31_224
; %bb.189:
	v_mov_b32_e32 v6, 0
	v_mov_b32_e32 v9, 1
	;; [unrolled: 1-line block ×3, first 2 shown]
	s_mov_b64 s[8:9], 0xbc8f
	v_mov_b32_e32 v10, 0
	s_mov_b64 s[6:7], 0
	s_brev_b32 s17, -2
	v_mov_b32_e32 v7, v5
	s_branch .LBB31_191
.LBB31_190:                             ;   in Loop: Header=BB31_191 Depth=1
	s_or_b64 exec, exec, s[14:15]
	s_mul_i32 s9, s8, s9
	s_mul_hi_u32 s14, s8, s8
	s_add_i32 s14, s14, s9
	s_add_i32 s14, s14, s9
	s_mul_i32 s15, s8, s8
	s_mul_i32 s9, s14, 3
	s_mul_hi_u32 s18, s15, 3
	s_mul_hi_u32 s8, s14, 3
	s_add_u32 s9, s9, s18
	s_addc_u32 s8, s8, 0
	s_mul_i32 s19, s15, 0x80000001
	s_mul_hi_u32 s18, s15, 0x80000001
	s_add_u32 s9, s19, s9
	s_addc_u32 s9, s18, 0
	s_add_u32 s8, s8, s9
	s_addc_u32 s9, 0, 0
	s_mul_i32 s19, s14, 0x80000001
	s_mul_hi_u32 s18, s14, 0x80000001
	s_add_u32 s8, s19, s8
	s_addc_u32 s9, s18, s9
	s_lshr_b32 s18, s9, 30
	s_lshr_b64 s[8:9], s[8:9], 30
	s_mul_i32 s18, s18, 0x7fffffff
	s_mul_hi_u32 s9, s8, 0x7fffffff
	v_lshrrev_b64 v[16:17], 1, v[7:8]
	s_add_i32 s9, s9, s18
	s_mul_i32 s8, s8, 0x7fffffff
	s_sub_u32 s8, s15, s8
	v_cmp_gt_u64_e32 vcc, 2, v[7:8]
	s_subb_u32 s9, s14, s9
	v_mov_b32_e32 v7, v16
	s_or_b64 s[6:7], vcc, s[6:7]
	v_mov_b32_e32 v8, v17
	s_andn2_b64 exec, exec, s[6:7]
	s_cbranch_execz .LBB31_223
.LBB31_191:                             ; =>This Inner Loop Header: Depth=1
	v_and_b32_e32 v5, 1, v7
	v_cmp_eq_u32_e32 vcc, 1, v5
	s_and_saveexec_b64 s[14:15], vcc
	s_cbranch_execz .LBB31_190
; %bb.192:                              ;   in Loop: Header=BB31_191 Depth=1
	v_mad_u64_u32 v[16:17], s[18:19], s8, v9, 0
	v_mul_lo_u32 v9, s9, v9
	v_mul_lo_u32 v10, s8, v10
	v_mul_hi_u32 v5, v16, 5
	v_add3_u32 v19, v17, v10, v9
	v_mad_u64_u32 v[9:10], s[18:19], v19, 5, v[5:6]
	v_mov_b32_e32 v5, v9
	v_mad_u64_u32 v[17:18], s[18:19], v16, 2, v[5:6]
	v_add_co_u32_e32 v9, vcc, v10, v18
	v_addc_co_u32_e64 v10, s[18:19], 0, 0, vcc
	v_mad_u64_u32 v[9:10], s[18:19], v19, 2, v[9:10]
	v_sub_co_u32_e32 v17, vcc, v16, v9
	v_subb_co_u32_e32 v18, vcc, v19, v10, vcc
	v_lshrrev_b64 v[17:18], 1, v[17:18]
	v_add_co_u32_e32 v5, vcc, v17, v9
	v_addc_co_u32_e32 v17, vcc, v18, v10, vcc
	v_alignbit_b32 v5, v17, v5, 30
	v_mad_u64_u32 v[9:10], s[18:19], v5, s17, 0
	v_lshrrev_b32_e32 v17, 30, v17
	v_mov_b32_e32 v5, v10
	v_mad_u64_u32 v[17:18], s[18:19], v17, s17, v[5:6]
	v_sub_co_u32_e32 v9, vcc, v16, v9
	v_subb_co_u32_e32 v10, vcc, v19, v17, vcc
	s_branch .LBB31_190
.LBB31_193:
	s_or_b64 exec, exec, s[6:7]
	v_add_u32_e32 v6, 0x80000001, v10
	v_min_u32_e32 v6, v6, v10
	v_add_u32_e32 v7, 0x80000001, v6
	v_min_u32_e32 v8, v7, v6
.LBB31_194:
	s_or_b64 exec, exec, s[4:5]
	v_mov_b32_e32 v6, 0
	s_movk_i32 s6, 0x1388
	s_mov_b32 s7, 0xbc8f1391
	s_mov_b32 s8, 0xbc8f
	s_brev_b32 s9, 12
	s_mov_b32 s16, 0xf800000
	v_mov_b32_e32 v7, 0x260
.LBB31_195:                             ; =>This Inner Loop Header: Depth=1
	v_mul_hi_u32 v9, v8, s7
	v_add_f32_e32 v10, 1.0, v6
	s_add_i32 s6, s6, -2
	s_cmp_lg_u32 s6, 0
	v_lshrrev_b32_e32 v9, 15, v9
	v_mul_u32_u24_e32 v11, 0xadc8, v9
	v_sub_u32_e32 v8, v8, v11
	v_mul_lo_u32 v8, v8, s8
	v_mul_u32_u24_e32 v9, 0xd47, v9
	v_xor_b32_e32 v11, 0x7fffffff, v9
	v_sub_u32_e32 v17, 0, v9
	v_cmp_lt_u32_e32 vcc, v8, v9
	v_cndmask_b32_e32 v9, v17, v11, vcc
	v_add_u32_e32 v8, v9, v8
	v_mul_hi_u32 v11, v8, s7
	v_add_u32_e32 v9, -1, v8
	v_cvt_f32_u32_e32 v9, v9
	v_lshrrev_b32_e32 v11, 15, v11
	v_mul_u32_u24_e32 v17, 0xadc8, v11
	v_sub_u32_e32 v8, v8, v17
	v_mul_lo_u32 v8, v8, s8
	v_mul_u32_u24_e32 v11, 0xd47, v11
	v_xor_b32_e32 v17, 0x7fffffff, v11
	v_sub_u32_e32 v18, 0, v11
	v_cmp_lt_u32_e32 vcc, v8, v11
	v_cndmask_b32_e32 v11, v18, v17, vcc
	v_add_u32_e32 v8, v11, v8
	v_mul_hi_u32 v17, v8, s7
	v_add_u32_e32 v11, -1, v8
	v_cvt_f32_u32_e32 v11, v11
	v_fma_f32 v9, v9, s9, 0
	v_lshrrev_b32_e32 v17, 15, v17
	v_mul_u32_u24_e32 v18, 0xadc8, v17
	v_fma_f32 v11, v11, s9, 0
	v_sub_u32_e32 v8, v8, v18
	v_mul_f32_e32 v11, v11, v11
	v_mul_lo_u32 v8, v8, s8
	v_fmac_f32_e32 v11, v9, v9
	v_mul_f32_e32 v9, 0x4f800000, v11
	v_cmp_gt_f32_e32 vcc, s16, v11
	v_mul_u32_u24_e32 v17, 0xd47, v17
	v_cndmask_b32_e32 v9, v11, v9, vcc
	v_xor_b32_e32 v18, 0x7fffffff, v17
	v_sub_u32_e32 v19, 0, v17
	v_sqrt_f32_e32 v11, v9
	v_cmp_lt_u32_e64 s[4:5], v8, v17
	v_cndmask_b32_e64 v17, v19, v18, s[4:5]
	v_add_u32_e32 v8, v17, v8
	v_mul_hi_u32 v18, v8, s7
	v_add_u32_e32 v19, -1, v11
	v_add_u32_e32 v20, 1, v11
	v_fma_f32 v21, -v19, v11, v9
	v_fma_f32 v22, -v20, v11, v9
	v_cmp_ge_f32_e64 s[4:5], 0, v21
	v_cndmask_b32_e64 v11, v11, v19, s[4:5]
	v_cmp_lt_f32_e64 s[4:5], 0, v22
	v_lshrrev_b32_e32 v18, 15, v18
	v_cndmask_b32_e64 v11, v11, v20, s[4:5]
	v_mul_u32_u24_e32 v20, 0xadc8, v18
	v_add_u32_e32 v17, -1, v8
	v_sub_u32_e32 v8, v8, v20
	v_mul_f32_e32 v19, 0x37800000, v11
	v_mul_lo_u32 v8, v8, s8
	v_cndmask_b32_e32 v11, v11, v19, vcc
	v_cmp_class_f32_e32 vcc, v9, v7
	v_cndmask_b32_e32 v9, v11, v9, vcc
	v_mul_u32_u24_e32 v18, 0xd47, v18
	v_cmp_nge_f32_e32 vcc, 1.0, v9
	v_xor_b32_e32 v19, 0x7fffffff, v18
	v_sub_u32_e32 v20, 0, v18
	v_cndmask_b32_e32 v6, v10, v6, vcc
	v_cmp_lt_u32_e32 vcc, v8, v18
	v_cndmask_b32_e32 v10, v20, v19, vcc
	v_add_u32_e32 v8, v10, v8
	v_add_u32_e32 v10, -1, v8
	v_cvt_f32_u32_e32 v10, v10
	v_cvt_f32_u32_e32 v17, v17
	v_add_f32_e32 v9, 1.0, v6
	v_fma_f32 v10, v10, s9, 0
	v_fma_f32 v17, v17, s9, 0
	v_mul_f32_e32 v10, v10, v10
	v_fmac_f32_e32 v10, v17, v17
	v_mul_f32_e32 v11, 0x4f800000, v10
	v_cmp_gt_f32_e32 vcc, s16, v10
	v_cndmask_b32_e32 v10, v10, v11, vcc
	v_sqrt_f32_e32 v11, v10
	v_add_u32_e32 v17, -1, v11
	v_add_u32_e32 v18, 1, v11
	v_fma_f32 v19, -v17, v11, v10
	v_fma_f32 v20, -v18, v11, v10
	v_cmp_ge_f32_e64 s[4:5], 0, v19
	v_cndmask_b32_e64 v11, v11, v17, s[4:5]
	v_cmp_lt_f32_e64 s[4:5], 0, v20
	v_cndmask_b32_e64 v11, v11, v18, s[4:5]
	v_mul_f32_e32 v17, 0x37800000, v11
	v_cndmask_b32_e32 v11, v11, v17, vcc
	v_cmp_class_f32_e32 vcc, v10, v7
	v_cndmask_b32_e32 v10, v11, v10, vcc
	v_cmp_nge_f32_e32 vcc, 1.0, v10
	v_cndmask_b32_e32 v6, v9, v6, vcc
	s_cbranch_scc1 .LBB31_195
; %bb.196:
	v_mul_f32_e32 v7, 4.0, v12
	s_mov_b32 s16, 0x459c4000
	v_div_scale_f32 v8, s[4:5], s16, s16, v7
	v_mul_f32_e32 v9, 4.0, v16
	v_div_scale_f32 v11, vcc, v7, s16, v7
	v_div_scale_f32 v10, s[4:5], s16, s16, v9
	v_mul_f32_e32 v12, 4.0, v15
	v_div_scale_f32 v15, s[4:5], v9, s16, v9
	v_div_scale_f32 v16, s[6:7], s16, s16, v12
	;; [unrolled: 1-line block ×3, first 2 shown]
	v_mul_f32_e32 v6, 4.0, v6
	v_rcp_f32_e32 v17, v8
	v_fma_f32 v20, -v8, v17, 1.0
	v_fmac_f32_e32 v17, v20, v17
	v_mul_f32_e32 v20, v11, v17
	v_rcp_f32_e32 v18, v10
	v_fma_f32 v22, -v8, v20, v11
	v_fmac_f32_e32 v20, v22, v17
	v_fma_f32 v8, -v8, v20, v11
	v_div_scale_f32 v11, s[8:9], s16, s16, v6
	v_fma_f32 v21, -v10, v18, 1.0
	v_fmac_f32_e32 v18, v21, v18
	v_div_fmas_f32 v8, v8, v17, v20
	v_mul_f32_e32 v17, v15, v18
	v_fma_f32 v20, -v10, v17, v15
	v_fmac_f32_e32 v17, v20, v18
	v_div_scale_f32 v20, s[8:9], v6, s16, v6
	v_rcp_f32_e32 v21, v16
	v_fma_f32 v10, -v10, v17, v15
	s_mov_b64 vcc, s[4:5]
	v_div_fmas_f32 v10, v10, v18, v17
	v_fma_f32 v15, -v16, v21, 1.0
	v_fmac_f32_e32 v21, v15, v21
	v_mul_f32_e32 v15, v19, v21
	v_fma_f32 v17, -v16, v15, v19
	v_fmac_f32_e32 v15, v17, v21
	v_rcp_f32_e32 v17, v11
	v_fma_f32 v16, -v16, v15, v19
	s_mov_b64 vcc, s[6:7]
	v_div_fmas_f32 v15, v16, v21, v15
	v_fma_f32 v16, -v11, v17, 1.0
	v_fmac_f32_e32 v17, v16, v17
	v_mul_f32_e32 v16, v20, v17
	v_fma_f32 v18, -v11, v16, v20
	v_fmac_f32_e32 v16, v18, v17
	v_fma_f32 v11, -v11, v16, v20
	s_mov_b64 vcc, s[8:9]
	v_div_fmas_f32 v11, v11, v17, v16
	v_div_fixup_f32 v7, v8, s16, v7
	v_div_fixup_f32 v8, v10, s16, v9
	;; [unrolled: 1-line block ×3, first 2 shown]
	v_add_f32_e32 v8, v9, v8
	v_add_f32_e32 v7, v8, v7
	v_div_fixup_f32 v6, v11, s16, v6
	v_add_f32_e32 v7, v7, v6
	v_mbcnt_lo_u32_b32 v6, -1, 0
	v_mbcnt_hi_u32_b32 v6, -1, v6
	v_add_f32_dpp v7, v7, v7 quad_perm:[1,0,3,2] row_mask:0xf bank_mask:0xf bound_ctrl:1
	v_lshlrev_b32_e32 v8, 2, v6
	v_or_b32_e32 v9, 0xfc, v8
	v_add_f32_dpp v7, v7, v7 quad_perm:[2,3,0,1] row_mask:0xf bank_mask:0xf bound_ctrl:1
	v_cmp_eq_u32_e32 vcc, 0, v6
	s_nop 0
	v_add_f32_dpp v7, v7, v7 row_ror:4 row_mask:0xf bank_mask:0xf bound_ctrl:1
	s_nop 1
	v_add_f32_dpp v7, v7, v7 row_ror:8 row_mask:0xf bank_mask:0xf bound_ctrl:1
	s_nop 1
	v_add_f32_dpp v7, v7, v7 row_bcast:15 row_mask:0xf bank_mask:0xf bound_ctrl:1
	s_nop 1
	v_add_f32_dpp v7, v7, v7 row_bcast:31 row_mask:0xf bank_mask:0xf bound_ctrl:1
	ds_bpermute_b32 v7, v9, v7
	s_and_saveexec_b64 s[4:5], vcc
	s_cbranch_execz .LBB31_198
; %bb.197:
	v_lshrrev_b32_e32 v9, 4, v14
	v_and_b32_e32 v9, 60, v9
	s_waitcnt lgkmcnt(0)
	ds_write_b32 v9, v7 offset:64
.LBB31_198:
	s_or_b64 exec, exec, s[4:5]
	v_cmp_gt_u32_e32 vcc, 64, v14
	s_waitcnt lgkmcnt(0)
	s_barrier
	s_and_saveexec_b64 s[4:5], vcc
	s_cbranch_execz .LBB31_200
; %bb.199:
	v_and_b32_e32 v7, 3, v6
	v_lshlrev_b32_e32 v9, 2, v7
	ds_read_b32 v9, v9 offset:64
	v_cmp_ne_u32_e32 vcc, 3, v7
	v_addc_co_u32_e32 v6, vcc, 0, v6, vcc
	v_lshlrev_b32_e32 v6, 2, v6
	s_waitcnt lgkmcnt(0)
	ds_bpermute_b32 v6, v6, v9
	v_or_b32_e32 v7, 8, v8
	s_waitcnt lgkmcnt(0)
	v_add_f32_e32 v6, v9, v6
	ds_bpermute_b32 v7, v7, v6
	s_waitcnt lgkmcnt(0)
	v_add_f32_e32 v7, v6, v7
.LBB31_200:
	s_or_b64 exec, exec, s[4:5]
                                        ; implicit-def: $vgpr15
	s_andn2_saveexec_b64 s[16:17], s[10:11]
	s_cbranch_execz .LBB31_13
.LBB31_201:
	v_subrev_u32_e32 v12, s18, v2
	v_mov_b32_e32 v16, 0
	v_cmp_lt_u32_e32 vcc, v14, v12
	v_mov_b32_e32 v17, v16
	v_mov_b32_e32 v18, v16
	;; [unrolled: 1-line block ×3, first 2 shown]
	s_and_saveexec_b64 s[6:7], vcc
	s_cbranch_execz .LBB31_624
; %bb.202:
	v_add_u32_e32 v6, v15, v14
	s_movk_i32 s4, 0x1388
	v_mul_lo_u32 v6, v6, s4
	v_mov_b32_e32 v8, 1
	v_cmp_ne_u32_e32 vcc, 0, v6
	s_and_saveexec_b64 s[4:5], vcc
	s_cbranch_execz .LBB31_621
; %bb.203:
	v_mov_b32_e32 v7, 0
	v_mov_b32_e32 v10, 1
	v_mov_b32_e32 v9, v7
	s_mov_b64 s[10:11], 0xbc8f
	v_mov_b32_e32 v11, 0
	s_mov_b64 s[8:9], 0
	s_brev_b32 s20, -2
	v_mov_b32_e32 v8, v6
	s_branch .LBB31_205
.LBB31_204:                             ;   in Loop: Header=BB31_205 Depth=1
	s_or_b64 exec, exec, s[18:19]
	s_mul_i32 s11, s10, s11
	s_mul_hi_u32 s18, s10, s10
	s_add_i32 s18, s18, s11
	s_add_i32 s18, s18, s11
	s_mul_i32 s19, s10, s10
	s_mul_i32 s11, s18, 3
	s_mul_hi_u32 s21, s19, 3
	s_mul_hi_u32 s10, s18, 3
	s_add_u32 s11, s11, s21
	s_addc_u32 s10, s10, 0
	s_mul_i32 s22, s19, 0x80000001
	s_mul_hi_u32 s21, s19, 0x80000001
	s_add_u32 s11, s22, s11
	s_addc_u32 s11, s21, 0
	s_add_u32 s10, s10, s11
	s_addc_u32 s11, 0, 0
	s_mul_i32 s22, s18, 0x80000001
	s_mul_hi_u32 s21, s18, 0x80000001
	s_add_u32 s10, s22, s10
	s_addc_u32 s11, s21, s11
	s_lshr_b32 s21, s11, 30
	s_lshr_b64 s[10:11], s[10:11], 30
	s_mul_i32 s21, s21, 0x7fffffff
	s_mul_hi_u32 s11, s10, 0x7fffffff
	v_lshrrev_b64 v[16:17], 1, v[8:9]
	s_add_i32 s11, s11, s21
	s_mul_i32 s10, s10, 0x7fffffff
	s_sub_u32 s10, s19, s10
	v_cmp_gt_u64_e32 vcc, 2, v[8:9]
	s_subb_u32 s11, s18, s11
	v_mov_b32_e32 v8, v16
	s_or_b64 s[8:9], vcc, s[8:9]
	v_mov_b32_e32 v9, v17
	s_andn2_b64 exec, exec, s[8:9]
	s_cbranch_execz .LBB31_620
.LBB31_205:                             ; =>This Inner Loop Header: Depth=1
	v_and_b32_e32 v6, 1, v8
	v_cmp_eq_u32_e32 vcc, 1, v6
	s_and_saveexec_b64 s[18:19], vcc
	s_cbranch_execz .LBB31_204
; %bb.206:                              ;   in Loop: Header=BB31_205 Depth=1
	v_mad_u64_u32 v[16:17], s[22:23], s10, v10, 0
	v_mul_lo_u32 v10, s11, v10
	v_mul_lo_u32 v11, s10, v11
	v_mul_hi_u32 v6, v16, 5
	v_add3_u32 v19, v17, v11, v10
	v_mad_u64_u32 v[10:11], s[22:23], v19, 5, v[6:7]
	v_mov_b32_e32 v6, v10
	v_mad_u64_u32 v[17:18], s[22:23], v16, 2, v[6:7]
	v_add_co_u32_e32 v10, vcc, v11, v18
	v_addc_co_u32_e64 v11, s[22:23], 0, 0, vcc
	v_mad_u64_u32 v[10:11], s[22:23], v19, 2, v[10:11]
	v_sub_co_u32_e32 v17, vcc, v16, v10
	v_subb_co_u32_e32 v18, vcc, v19, v11, vcc
	v_lshrrev_b64 v[17:18], 1, v[17:18]
	v_add_co_u32_e32 v6, vcc, v17, v10
	v_addc_co_u32_e32 v17, vcc, v18, v11, vcc
	v_alignbit_b32 v6, v17, v6, 30
	v_mad_u64_u32 v[10:11], s[22:23], v6, s20, 0
	v_lshrrev_b32_e32 v17, 30, v17
	v_mov_b32_e32 v6, v11
	v_mad_u64_u32 v[17:18], s[22:23], v17, s20, v[6:7]
	v_sub_co_u32_e32 v10, vcc, v16, v10
	v_subb_co_u32_e32 v11, vcc, v19, v17, vcc
	s_branch .LBB31_204
.LBB31_207:
	s_or_b64 exec, exec, s[6:7]
	v_add_u32_e32 v7, 0x80000001, v11
	v_min_u32_e32 v7, v7, v11
	v_add_u32_e32 v8, 0x80000001, v7
	v_min_u32_e32 v8, v8, v7
.LBB31_208:
	s_or_b64 exec, exec, s[4:5]
	v_mov_b32_e32 v18, 0
	s_movk_i32 s6, 0x1388
	s_mov_b32 s7, 0xbc8f1391
	s_mov_b32 s8, 0xbc8f
	s_brev_b32 s9, 12
	s_mov_b32 s14, 0xf800000
	v_mov_b32_e32 v7, 0x260
.LBB31_209:                             ; =>This Inner Loop Header: Depth=1
	v_mul_hi_u32 v9, v8, s7
	v_add_f32_e32 v10, 1.0, v18
	s_add_i32 s6, s6, -2
	s_cmp_lg_u32 s6, 0
	v_lshrrev_b32_e32 v9, 15, v9
	v_mul_u32_u24_e32 v11, 0xadc8, v9
	v_sub_u32_e32 v8, v8, v11
	v_mul_lo_u32 v8, v8, s8
	v_mul_u32_u24_e32 v9, 0xd47, v9
	v_xor_b32_e32 v11, 0x7fffffff, v9
	v_sub_u32_e32 v12, 0, v9
	v_cmp_lt_u32_e32 vcc, v8, v9
	v_cndmask_b32_e32 v9, v12, v11, vcc
	v_add_u32_e32 v8, v9, v8
	v_mul_hi_u32 v11, v8, s7
	v_add_u32_e32 v9, -1, v8
	v_cvt_f32_u32_e32 v9, v9
	v_lshrrev_b32_e32 v11, 15, v11
	v_mul_u32_u24_e32 v12, 0xadc8, v11
	v_sub_u32_e32 v8, v8, v12
	v_mul_lo_u32 v8, v8, s8
	v_mul_u32_u24_e32 v11, 0xd47, v11
	v_xor_b32_e32 v12, 0x7fffffff, v11
	v_sub_u32_e32 v19, 0, v11
	v_cmp_lt_u32_e32 vcc, v8, v11
	v_cndmask_b32_e32 v11, v19, v12, vcc
	v_add_u32_e32 v8, v11, v8
	v_mul_hi_u32 v12, v8, s7
	v_add_u32_e32 v11, -1, v8
	v_cvt_f32_u32_e32 v11, v11
	v_fma_f32 v9, v9, s9, 0
	v_lshrrev_b32_e32 v12, 15, v12
	v_mul_u32_u24_e32 v19, 0xadc8, v12
	v_fma_f32 v11, v11, s9, 0
	v_sub_u32_e32 v8, v8, v19
	v_mul_f32_e32 v11, v11, v11
	v_mul_lo_u32 v8, v8, s8
	v_fmac_f32_e32 v11, v9, v9
	v_mul_f32_e32 v9, 0x4f800000, v11
	v_cmp_gt_f32_e32 vcc, s14, v11
	v_mul_u32_u24_e32 v12, 0xd47, v12
	v_cndmask_b32_e32 v9, v11, v9, vcc
	v_xor_b32_e32 v19, 0x7fffffff, v12
	v_sub_u32_e32 v20, 0, v12
	v_sqrt_f32_e32 v11, v9
	v_cmp_lt_u32_e64 s[4:5], v8, v12
	v_cndmask_b32_e64 v12, v20, v19, s[4:5]
	v_add_u32_e32 v8, v12, v8
	v_mul_hi_u32 v19, v8, s7
	v_add_u32_e32 v20, -1, v11
	v_add_u32_e32 v21, 1, v11
	v_fma_f32 v22, -v20, v11, v9
	v_fma_f32 v23, -v21, v11, v9
	v_cmp_ge_f32_e64 s[4:5], 0, v22
	v_cndmask_b32_e64 v11, v11, v20, s[4:5]
	v_cmp_lt_f32_e64 s[4:5], 0, v23
	v_lshrrev_b32_e32 v19, 15, v19
	v_cndmask_b32_e64 v11, v11, v21, s[4:5]
	v_mul_u32_u24_e32 v21, 0xadc8, v19
	v_add_u32_e32 v12, -1, v8
	v_sub_u32_e32 v8, v8, v21
	v_mul_f32_e32 v20, 0x37800000, v11
	v_mul_lo_u32 v8, v8, s8
	v_cndmask_b32_e32 v11, v11, v20, vcc
	v_cmp_class_f32_e32 vcc, v9, v7
	v_cndmask_b32_e32 v9, v11, v9, vcc
	v_mul_u32_u24_e32 v19, 0xd47, v19
	v_cmp_nge_f32_e32 vcc, 1.0, v9
	v_xor_b32_e32 v20, 0x7fffffff, v19
	v_sub_u32_e32 v21, 0, v19
	v_cndmask_b32_e32 v9, v10, v18, vcc
	v_cmp_lt_u32_e32 vcc, v8, v19
	v_cndmask_b32_e32 v11, v21, v20, vcc
	v_add_u32_e32 v8, v11, v8
	v_add_u32_e32 v11, -1, v8
	v_cvt_f32_u32_e32 v11, v11
	v_cvt_f32_u32_e32 v12, v12
	v_add_f32_e32 v10, 1.0, v9
	v_fma_f32 v11, v11, s9, 0
	v_fma_f32 v12, v12, s9, 0
	v_mul_f32_e32 v11, v11, v11
	v_fmac_f32_e32 v11, v12, v12
	v_mul_f32_e32 v12, 0x4f800000, v11
	v_cmp_gt_f32_e32 vcc, s14, v11
	v_cndmask_b32_e32 v11, v11, v12, vcc
	v_sqrt_f32_e32 v12, v11
	v_add_u32_e32 v18, -1, v12
	v_add_u32_e32 v19, 1, v12
	v_fma_f32 v20, -v18, v12, v11
	v_fma_f32 v21, -v19, v12, v11
	v_cmp_ge_f32_e64 s[4:5], 0, v20
	v_cndmask_b32_e64 v12, v12, v18, s[4:5]
	v_cmp_lt_f32_e64 s[4:5], 0, v21
	v_cndmask_b32_e64 v12, v12, v19, s[4:5]
	v_mul_f32_e32 v18, 0x37800000, v12
	v_cndmask_b32_e32 v12, v12, v18, vcc
	v_cmp_class_f32_e32 vcc, v11, v7
	v_cndmask_b32_e32 v11, v12, v11, vcc
	v_cmp_nge_f32_e32 vcc, 1.0, v11
	v_cndmask_b32_e32 v18, v10, v9, vcc
	s_cbranch_scc1 .LBB31_209
; %bb.210:
	v_add_u32_e32 v7, 0x4e2000, v6
	v_cmp_ne_u32_e32 vcc, 0, v7
	v_mov_b32_e32 v8, 1
	s_and_saveexec_b64 s[4:5], vcc
	s_cbranch_execz .LBB31_232
; %bb.211:
	v_mov_b32_e32 v8, 0
	v_mov_b32_e32 v11, 1
	;; [unrolled: 1-line block ×3, first 2 shown]
	s_mov_b64 s[8:9], 0xbc8f
	v_mov_b32_e32 v12, 0
	s_mov_b64 s[6:7], 0
	s_brev_b32 s17, -2
	v_mov_b32_e32 v9, v7
	s_branch .LBB31_213
.LBB31_212:                             ;   in Loop: Header=BB31_213 Depth=1
	s_or_b64 exec, exec, s[14:15]
	s_mul_i32 s9, s8, s9
	s_mul_hi_u32 s14, s8, s8
	s_add_i32 s14, s14, s9
	s_add_i32 s14, s14, s9
	s_mul_i32 s15, s8, s8
	s_mul_i32 s9, s14, 3
	s_mul_hi_u32 s18, s15, 3
	s_mul_hi_u32 s8, s14, 3
	s_add_u32 s9, s9, s18
	s_addc_u32 s8, s8, 0
	s_mul_i32 s19, s15, 0x80000001
	s_mul_hi_u32 s18, s15, 0x80000001
	s_add_u32 s9, s19, s9
	s_addc_u32 s9, s18, 0
	s_add_u32 s8, s8, s9
	s_addc_u32 s9, 0, 0
	s_mul_i32 s19, s14, 0x80000001
	s_mul_hi_u32 s18, s14, 0x80000001
	s_add_u32 s8, s19, s8
	s_addc_u32 s9, s18, s9
	s_lshr_b32 s18, s9, 30
	s_lshr_b64 s[8:9], s[8:9], 30
	s_mul_i32 s18, s18, 0x7fffffff
	s_mul_hi_u32 s9, s8, 0x7fffffff
	v_lshrrev_b64 v[19:20], 1, v[9:10]
	s_add_i32 s9, s9, s18
	s_mul_i32 s8, s8, 0x7fffffff
	s_sub_u32 s8, s15, s8
	v_cmp_gt_u64_e32 vcc, 2, v[9:10]
	s_subb_u32 s9, s14, s9
	v_mov_b32_e32 v9, v19
	s_or_b64 s[6:7], vcc, s[6:7]
	v_mov_b32_e32 v10, v20
	s_andn2_b64 exec, exec, s[6:7]
	s_cbranch_execz .LBB31_231
.LBB31_213:                             ; =>This Inner Loop Header: Depth=1
	v_and_b32_e32 v7, 1, v9
	v_cmp_eq_u32_e32 vcc, 1, v7
	s_and_saveexec_b64 s[14:15], vcc
	s_cbranch_execz .LBB31_212
; %bb.214:                              ;   in Loop: Header=BB31_213 Depth=1
	v_mad_u64_u32 v[19:20], s[18:19], s8, v11, 0
	v_mul_lo_u32 v11, s9, v11
	v_mul_lo_u32 v12, s8, v12
	v_mul_hi_u32 v7, v19, 5
	v_add3_u32 v22, v20, v12, v11
	v_mad_u64_u32 v[11:12], s[18:19], v22, 5, v[7:8]
	v_mov_b32_e32 v7, v11
	v_mad_u64_u32 v[20:21], s[18:19], v19, 2, v[7:8]
	v_add_co_u32_e32 v11, vcc, v12, v21
	v_addc_co_u32_e64 v12, s[18:19], 0, 0, vcc
	v_mad_u64_u32 v[11:12], s[18:19], v22, 2, v[11:12]
	v_sub_co_u32_e32 v20, vcc, v19, v11
	v_subb_co_u32_e32 v21, vcc, v22, v12, vcc
	v_lshrrev_b64 v[20:21], 1, v[20:21]
	v_add_co_u32_e32 v7, vcc, v20, v11
	v_addc_co_u32_e32 v20, vcc, v21, v12, vcc
	v_alignbit_b32 v7, v20, v7, 30
	v_mad_u64_u32 v[11:12], s[18:19], v7, s17, 0
	v_lshrrev_b32_e32 v20, 30, v20
	v_mov_b32_e32 v7, v12
	v_mad_u64_u32 v[20:21], s[18:19], v20, s17, v[7:8]
	v_sub_co_u32_e32 v11, vcc, v19, v11
	v_subb_co_u32_e32 v12, vcc, v22, v20, vcc
	s_branch .LBB31_212
.LBB31_215:
	s_or_b64 exec, exec, s[6:7]
	v_add_u32_e32 v7, 0x80000001, v11
	v_min_u32_e32 v7, v7, v11
	v_add_u32_e32 v8, 0x80000001, v7
	v_min_u32_e32 v8, v8, v7
.LBB31_216:
	s_or_b64 exec, exec, s[4:5]
	v_mov_b32_e32 v18, 0
	s_movk_i32 s6, 0x1388
	s_mov_b32 s7, 0xbc8f1391
	s_mov_b32 s8, 0xbc8f
	s_brev_b32 s9, 12
	s_mov_b32 s14, 0xf800000
	v_mov_b32_e32 v7, 0x260
.LBB31_217:                             ; =>This Inner Loop Header: Depth=1
	v_mul_hi_u32 v9, v8, s7
	v_add_f32_e32 v10, 1.0, v18
	s_add_i32 s6, s6, -2
	s_cmp_lg_u32 s6, 0
	v_lshrrev_b32_e32 v9, 15, v9
	v_mul_u32_u24_e32 v11, 0xadc8, v9
	v_sub_u32_e32 v8, v8, v11
	v_mul_lo_u32 v8, v8, s8
	v_mul_u32_u24_e32 v9, 0xd47, v9
	v_xor_b32_e32 v11, 0x7fffffff, v9
	v_sub_u32_e32 v12, 0, v9
	v_cmp_lt_u32_e32 vcc, v8, v9
	v_cndmask_b32_e32 v9, v12, v11, vcc
	v_add_u32_e32 v8, v9, v8
	v_mul_hi_u32 v11, v8, s7
	v_add_u32_e32 v9, -1, v8
	v_cvt_f32_u32_e32 v9, v9
	v_lshrrev_b32_e32 v11, 15, v11
	v_mul_u32_u24_e32 v12, 0xadc8, v11
	v_sub_u32_e32 v8, v8, v12
	v_mul_lo_u32 v8, v8, s8
	v_mul_u32_u24_e32 v11, 0xd47, v11
	v_xor_b32_e32 v12, 0x7fffffff, v11
	v_sub_u32_e32 v19, 0, v11
	v_cmp_lt_u32_e32 vcc, v8, v11
	v_cndmask_b32_e32 v11, v19, v12, vcc
	v_add_u32_e32 v8, v11, v8
	v_mul_hi_u32 v12, v8, s7
	v_add_u32_e32 v11, -1, v8
	v_cvt_f32_u32_e32 v11, v11
	v_fma_f32 v9, v9, s9, 0
	v_lshrrev_b32_e32 v12, 15, v12
	v_mul_u32_u24_e32 v19, 0xadc8, v12
	v_fma_f32 v11, v11, s9, 0
	v_sub_u32_e32 v8, v8, v19
	v_mul_f32_e32 v11, v11, v11
	v_mul_lo_u32 v8, v8, s8
	v_fmac_f32_e32 v11, v9, v9
	v_mul_f32_e32 v9, 0x4f800000, v11
	v_cmp_gt_f32_e32 vcc, s14, v11
	v_mul_u32_u24_e32 v12, 0xd47, v12
	v_cndmask_b32_e32 v9, v11, v9, vcc
	v_xor_b32_e32 v19, 0x7fffffff, v12
	v_sub_u32_e32 v20, 0, v12
	v_sqrt_f32_e32 v11, v9
	v_cmp_lt_u32_e64 s[4:5], v8, v12
	v_cndmask_b32_e64 v12, v20, v19, s[4:5]
	v_add_u32_e32 v8, v12, v8
	v_mul_hi_u32 v19, v8, s7
	v_add_u32_e32 v20, -1, v11
	v_add_u32_e32 v21, 1, v11
	v_fma_f32 v22, -v20, v11, v9
	v_fma_f32 v23, -v21, v11, v9
	v_cmp_ge_f32_e64 s[4:5], 0, v22
	v_cndmask_b32_e64 v11, v11, v20, s[4:5]
	v_cmp_lt_f32_e64 s[4:5], 0, v23
	v_lshrrev_b32_e32 v19, 15, v19
	v_cndmask_b32_e64 v11, v11, v21, s[4:5]
	v_mul_u32_u24_e32 v21, 0xadc8, v19
	v_add_u32_e32 v12, -1, v8
	v_sub_u32_e32 v8, v8, v21
	v_mul_f32_e32 v20, 0x37800000, v11
	v_mul_lo_u32 v8, v8, s8
	v_cndmask_b32_e32 v11, v11, v20, vcc
	v_cmp_class_f32_e32 vcc, v9, v7
	v_cndmask_b32_e32 v9, v11, v9, vcc
	v_mul_u32_u24_e32 v19, 0xd47, v19
	v_cmp_nge_f32_e32 vcc, 1.0, v9
	v_xor_b32_e32 v20, 0x7fffffff, v19
	v_sub_u32_e32 v21, 0, v19
	v_cndmask_b32_e32 v9, v10, v18, vcc
	v_cmp_lt_u32_e32 vcc, v8, v19
	v_cndmask_b32_e32 v11, v21, v20, vcc
	v_add_u32_e32 v8, v11, v8
	v_add_u32_e32 v11, -1, v8
	v_cvt_f32_u32_e32 v11, v11
	v_cvt_f32_u32_e32 v12, v12
	v_add_f32_e32 v10, 1.0, v9
	v_fma_f32 v11, v11, s9, 0
	v_fma_f32 v12, v12, s9, 0
	v_mul_f32_e32 v11, v11, v11
	v_fmac_f32_e32 v11, v12, v12
	v_mul_f32_e32 v12, 0x4f800000, v11
	v_cmp_gt_f32_e32 vcc, s14, v11
	v_cndmask_b32_e32 v11, v11, v12, vcc
	v_sqrt_f32_e32 v12, v11
	v_add_u32_e32 v18, -1, v12
	v_add_u32_e32 v19, 1, v12
	v_fma_f32 v20, -v18, v12, v11
	v_fma_f32 v21, -v19, v12, v11
	v_cmp_ge_f32_e64 s[4:5], 0, v20
	v_cndmask_b32_e64 v12, v12, v18, s[4:5]
	v_cmp_lt_f32_e64 s[4:5], 0, v21
	v_cndmask_b32_e64 v12, v12, v19, s[4:5]
	v_mul_f32_e32 v18, 0x37800000, v12
	v_cndmask_b32_e32 v12, v12, v18, vcc
	v_cmp_class_f32_e32 vcc, v11, v7
	v_cndmask_b32_e32 v11, v12, v11, vcc
	v_cmp_nge_f32_e32 vcc, 1.0, v11
	v_cndmask_b32_e32 v18, v10, v9, vcc
	s_cbranch_scc1 .LBB31_217
; %bb.218:
	v_add_u32_e32 v7, 0x4e2000, v6
	v_cmp_ne_u32_e32 vcc, 0, v7
	v_mov_b32_e32 v8, 1
	s_and_saveexec_b64 s[4:5], vcc
	s_cbranch_execz .LBB31_240
; %bb.219:
	v_mov_b32_e32 v8, 0
	v_mov_b32_e32 v11, 1
	;; [unrolled: 1-line block ×3, first 2 shown]
	s_mov_b64 s[8:9], 0xbc8f
	v_mov_b32_e32 v12, 0
	s_mov_b64 s[6:7], 0
	s_brev_b32 s17, -2
	v_mov_b32_e32 v9, v7
	s_branch .LBB31_221
.LBB31_220:                             ;   in Loop: Header=BB31_221 Depth=1
	s_or_b64 exec, exec, s[14:15]
	s_mul_i32 s9, s8, s9
	s_mul_hi_u32 s14, s8, s8
	s_add_i32 s14, s14, s9
	s_add_i32 s14, s14, s9
	s_mul_i32 s15, s8, s8
	s_mul_i32 s9, s14, 3
	s_mul_hi_u32 s18, s15, 3
	s_mul_hi_u32 s8, s14, 3
	s_add_u32 s9, s9, s18
	s_addc_u32 s8, s8, 0
	s_mul_i32 s19, s15, 0x80000001
	s_mul_hi_u32 s18, s15, 0x80000001
	s_add_u32 s9, s19, s9
	s_addc_u32 s9, s18, 0
	s_add_u32 s8, s8, s9
	s_addc_u32 s9, 0, 0
	s_mul_i32 s19, s14, 0x80000001
	s_mul_hi_u32 s18, s14, 0x80000001
	s_add_u32 s8, s19, s8
	s_addc_u32 s9, s18, s9
	s_lshr_b32 s18, s9, 30
	s_lshr_b64 s[8:9], s[8:9], 30
	s_mul_i32 s18, s18, 0x7fffffff
	s_mul_hi_u32 s9, s8, 0x7fffffff
	v_lshrrev_b64 v[19:20], 1, v[9:10]
	s_add_i32 s9, s9, s18
	s_mul_i32 s8, s8, 0x7fffffff
	s_sub_u32 s8, s15, s8
	v_cmp_gt_u64_e32 vcc, 2, v[9:10]
	s_subb_u32 s9, s14, s9
	v_mov_b32_e32 v9, v19
	s_or_b64 s[6:7], vcc, s[6:7]
	v_mov_b32_e32 v10, v20
	s_andn2_b64 exec, exec, s[6:7]
	s_cbranch_execz .LBB31_239
.LBB31_221:                             ; =>This Inner Loop Header: Depth=1
	v_and_b32_e32 v7, 1, v9
	v_cmp_eq_u32_e32 vcc, 1, v7
	s_and_saveexec_b64 s[14:15], vcc
	s_cbranch_execz .LBB31_220
; %bb.222:                              ;   in Loop: Header=BB31_221 Depth=1
	v_mad_u64_u32 v[19:20], s[18:19], s8, v11, 0
	v_mul_lo_u32 v11, s9, v11
	v_mul_lo_u32 v12, s8, v12
	v_mul_hi_u32 v7, v19, 5
	v_add3_u32 v22, v20, v12, v11
	v_mad_u64_u32 v[11:12], s[18:19], v22, 5, v[7:8]
	v_mov_b32_e32 v7, v11
	v_mad_u64_u32 v[20:21], s[18:19], v19, 2, v[7:8]
	v_add_co_u32_e32 v11, vcc, v12, v21
	v_addc_co_u32_e64 v12, s[18:19], 0, 0, vcc
	v_mad_u64_u32 v[11:12], s[18:19], v22, 2, v[11:12]
	v_sub_co_u32_e32 v20, vcc, v19, v11
	v_subb_co_u32_e32 v21, vcc, v22, v12, vcc
	v_lshrrev_b64 v[20:21], 1, v[20:21]
	v_add_co_u32_e32 v7, vcc, v20, v11
	v_addc_co_u32_e32 v20, vcc, v21, v12, vcc
	v_alignbit_b32 v7, v20, v7, 30
	v_mad_u64_u32 v[11:12], s[18:19], v7, s17, 0
	v_lshrrev_b32_e32 v20, 30, v20
	v_mov_b32_e32 v7, v12
	v_mad_u64_u32 v[20:21], s[18:19], v20, s17, v[7:8]
	v_sub_co_u32_e32 v11, vcc, v19, v11
	v_subb_co_u32_e32 v12, vcc, v22, v20, vcc
	s_branch .LBB31_220
.LBB31_223:
	s_or_b64 exec, exec, s[6:7]
	v_add_u32_e32 v5, 0x80000001, v9
	v_min_u32_e32 v5, v5, v9
	v_add_u32_e32 v6, 0x80000001, v5
	v_min_u32_e32 v6, v6, v5
.LBB31_224:
	s_or_b64 exec, exec, s[4:5]
	v_mov_b32_e32 v16, 0
	s_movk_i32 s6, 0x1388
	s_mov_b32 s7, 0xbc8f1391
	s_mov_b32 s8, 0xbc8f
	s_brev_b32 s9, 12
	s_mov_b32 s14, 0xf800000
	v_mov_b32_e32 v5, 0x260
.LBB31_225:                             ; =>This Inner Loop Header: Depth=1
	v_mul_hi_u32 v7, v6, s7
	v_add_f32_e32 v8, 1.0, v16
	s_add_i32 s6, s6, -2
	s_cmp_lg_u32 s6, 0
	v_lshrrev_b32_e32 v7, 15, v7
	v_mul_u32_u24_e32 v9, 0xadc8, v7
	v_sub_u32_e32 v6, v6, v9
	v_mul_lo_u32 v6, v6, s8
	v_mul_u32_u24_e32 v7, 0xd47, v7
	v_xor_b32_e32 v9, 0x7fffffff, v7
	v_sub_u32_e32 v10, 0, v7
	v_cmp_lt_u32_e32 vcc, v6, v7
	v_cndmask_b32_e32 v7, v10, v9, vcc
	v_add_u32_e32 v6, v7, v6
	v_mul_hi_u32 v9, v6, s7
	v_add_u32_e32 v7, -1, v6
	v_cvt_f32_u32_e32 v7, v7
	v_lshrrev_b32_e32 v9, 15, v9
	v_mul_u32_u24_e32 v10, 0xadc8, v9
	v_sub_u32_e32 v6, v6, v10
	v_mul_lo_u32 v6, v6, s8
	v_mul_u32_u24_e32 v9, 0xd47, v9
	v_xor_b32_e32 v10, 0x7fffffff, v9
	v_sub_u32_e32 v17, 0, v9
	v_cmp_lt_u32_e32 vcc, v6, v9
	v_cndmask_b32_e32 v9, v17, v10, vcc
	v_add_u32_e32 v6, v9, v6
	v_mul_hi_u32 v10, v6, s7
	v_add_u32_e32 v9, -1, v6
	v_cvt_f32_u32_e32 v9, v9
	v_fma_f32 v7, v7, s9, 0
	v_lshrrev_b32_e32 v10, 15, v10
	v_mul_u32_u24_e32 v17, 0xadc8, v10
	v_fma_f32 v9, v9, s9, 0
	v_sub_u32_e32 v6, v6, v17
	v_mul_f32_e32 v9, v9, v9
	v_mul_lo_u32 v6, v6, s8
	v_fmac_f32_e32 v9, v7, v7
	v_mul_f32_e32 v7, 0x4f800000, v9
	v_cmp_gt_f32_e32 vcc, s14, v9
	v_mul_u32_u24_e32 v10, 0xd47, v10
	v_cndmask_b32_e32 v7, v9, v7, vcc
	v_xor_b32_e32 v17, 0x7fffffff, v10
	v_sub_u32_e32 v18, 0, v10
	v_sqrt_f32_e32 v9, v7
	v_cmp_lt_u32_e64 s[4:5], v6, v10
	v_cndmask_b32_e64 v10, v18, v17, s[4:5]
	v_add_u32_e32 v6, v10, v6
	v_mul_hi_u32 v17, v6, s7
	v_add_u32_e32 v18, -1, v9
	v_add_u32_e32 v19, 1, v9
	v_fma_f32 v20, -v18, v9, v7
	v_fma_f32 v21, -v19, v9, v7
	v_cmp_ge_f32_e64 s[4:5], 0, v20
	v_cndmask_b32_e64 v9, v9, v18, s[4:5]
	v_cmp_lt_f32_e64 s[4:5], 0, v21
	v_lshrrev_b32_e32 v17, 15, v17
	v_cndmask_b32_e64 v9, v9, v19, s[4:5]
	v_mul_u32_u24_e32 v19, 0xadc8, v17
	v_add_u32_e32 v10, -1, v6
	v_sub_u32_e32 v6, v6, v19
	v_mul_f32_e32 v18, 0x37800000, v9
	v_mul_lo_u32 v6, v6, s8
	v_cndmask_b32_e32 v9, v9, v18, vcc
	v_cmp_class_f32_e32 vcc, v7, v5
	v_cndmask_b32_e32 v7, v9, v7, vcc
	v_mul_u32_u24_e32 v17, 0xd47, v17
	v_cmp_nge_f32_e32 vcc, 1.0, v7
	v_xor_b32_e32 v18, 0x7fffffff, v17
	v_sub_u32_e32 v19, 0, v17
	v_cndmask_b32_e32 v7, v8, v16, vcc
	v_cmp_lt_u32_e32 vcc, v6, v17
	v_cndmask_b32_e32 v9, v19, v18, vcc
	v_add_u32_e32 v6, v9, v6
	v_add_u32_e32 v9, -1, v6
	v_cvt_f32_u32_e32 v9, v9
	v_cvt_f32_u32_e32 v10, v10
	v_add_f32_e32 v8, 1.0, v7
	v_fma_f32 v9, v9, s9, 0
	v_fma_f32 v10, v10, s9, 0
	v_mul_f32_e32 v9, v9, v9
	v_fmac_f32_e32 v9, v10, v10
	v_mul_f32_e32 v10, 0x4f800000, v9
	v_cmp_gt_f32_e32 vcc, s14, v9
	v_cndmask_b32_e32 v9, v9, v10, vcc
	v_sqrt_f32_e32 v10, v9
	v_add_u32_e32 v16, -1, v10
	v_add_u32_e32 v17, 1, v10
	v_fma_f32 v18, -v16, v10, v9
	v_fma_f32 v19, -v17, v10, v9
	v_cmp_ge_f32_e64 s[4:5], 0, v18
	v_cndmask_b32_e64 v10, v10, v16, s[4:5]
	v_cmp_lt_f32_e64 s[4:5], 0, v19
	v_cndmask_b32_e64 v10, v10, v17, s[4:5]
	v_mul_f32_e32 v16, 0x37800000, v10
	v_cndmask_b32_e32 v10, v10, v16, vcc
	v_cmp_class_f32_e32 vcc, v9, v5
	v_cndmask_b32_e32 v9, v10, v9, vcc
	v_cmp_nge_f32_e32 vcc, 1.0, v9
	v_cndmask_b32_e32 v16, v8, v7, vcc
	s_cbranch_scc1 .LBB31_225
; %bb.226:
	v_add_u32_e32 v5, 0x4e2000, v4
	v_cmp_ne_u32_e32 vcc, 0, v5
	v_mov_b32_e32 v6, 1
	s_and_saveexec_b64 s[4:5], vcc
	s_cbranch_execz .LBB31_248
; %bb.227:
	v_mov_b32_e32 v6, 0
	v_mov_b32_e32 v9, 1
	;; [unrolled: 1-line block ×3, first 2 shown]
	s_mov_b64 s[8:9], 0xbc8f
	v_mov_b32_e32 v10, 0
	s_mov_b64 s[6:7], 0
	s_brev_b32 s17, -2
	v_mov_b32_e32 v7, v5
	s_branch .LBB31_229
.LBB31_228:                             ;   in Loop: Header=BB31_229 Depth=1
	s_or_b64 exec, exec, s[14:15]
	s_mul_i32 s9, s8, s9
	s_mul_hi_u32 s14, s8, s8
	s_add_i32 s14, s14, s9
	s_add_i32 s14, s14, s9
	s_mul_i32 s15, s8, s8
	s_mul_i32 s9, s14, 3
	s_mul_hi_u32 s18, s15, 3
	s_mul_hi_u32 s8, s14, 3
	s_add_u32 s9, s9, s18
	s_addc_u32 s8, s8, 0
	s_mul_i32 s19, s15, 0x80000001
	s_mul_hi_u32 s18, s15, 0x80000001
	s_add_u32 s9, s19, s9
	s_addc_u32 s9, s18, 0
	s_add_u32 s8, s8, s9
	s_addc_u32 s9, 0, 0
	s_mul_i32 s19, s14, 0x80000001
	s_mul_hi_u32 s18, s14, 0x80000001
	s_add_u32 s8, s19, s8
	s_addc_u32 s9, s18, s9
	s_lshr_b32 s18, s9, 30
	s_lshr_b64 s[8:9], s[8:9], 30
	s_mul_i32 s18, s18, 0x7fffffff
	s_mul_hi_u32 s9, s8, 0x7fffffff
	v_lshrrev_b64 v[17:18], 1, v[7:8]
	s_add_i32 s9, s9, s18
	s_mul_i32 s8, s8, 0x7fffffff
	s_sub_u32 s8, s15, s8
	v_cmp_gt_u64_e32 vcc, 2, v[7:8]
	s_subb_u32 s9, s14, s9
	v_mov_b32_e32 v7, v17
	s_or_b64 s[6:7], vcc, s[6:7]
	v_mov_b32_e32 v8, v18
	s_andn2_b64 exec, exec, s[6:7]
	s_cbranch_execz .LBB31_247
.LBB31_229:                             ; =>This Inner Loop Header: Depth=1
	v_and_b32_e32 v5, 1, v7
	v_cmp_eq_u32_e32 vcc, 1, v5
	s_and_saveexec_b64 s[14:15], vcc
	s_cbranch_execz .LBB31_228
; %bb.230:                              ;   in Loop: Header=BB31_229 Depth=1
	v_mad_u64_u32 v[17:18], s[18:19], s8, v9, 0
	v_mul_lo_u32 v9, s9, v9
	v_mul_lo_u32 v10, s8, v10
	v_mul_hi_u32 v5, v17, 5
	v_add3_u32 v20, v18, v10, v9
	v_mad_u64_u32 v[9:10], s[18:19], v20, 5, v[5:6]
	v_mov_b32_e32 v5, v9
	v_mad_u64_u32 v[18:19], s[18:19], v17, 2, v[5:6]
	v_add_co_u32_e32 v9, vcc, v10, v19
	v_addc_co_u32_e64 v10, s[18:19], 0, 0, vcc
	v_mad_u64_u32 v[9:10], s[18:19], v20, 2, v[9:10]
	v_sub_co_u32_e32 v18, vcc, v17, v9
	v_subb_co_u32_e32 v19, vcc, v20, v10, vcc
	v_lshrrev_b64 v[18:19], 1, v[18:19]
	v_add_co_u32_e32 v5, vcc, v18, v9
	v_addc_co_u32_e32 v18, vcc, v19, v10, vcc
	v_alignbit_b32 v5, v18, v5, 30
	v_mad_u64_u32 v[9:10], s[18:19], v5, s17, 0
	v_lshrrev_b32_e32 v18, 30, v18
	v_mov_b32_e32 v5, v10
	v_mad_u64_u32 v[18:19], s[18:19], v18, s17, v[5:6]
	v_sub_co_u32_e32 v9, vcc, v17, v9
	v_subb_co_u32_e32 v10, vcc, v20, v18, vcc
	s_branch .LBB31_228
.LBB31_231:
	s_or_b64 exec, exec, s[6:7]
	v_add_u32_e32 v7, 0x80000001, v11
	v_min_u32_e32 v7, v7, v11
	v_add_u32_e32 v8, 0x80000001, v7
	v_min_u32_e32 v8, v8, v7
.LBB31_232:
	s_or_b64 exec, exec, s[4:5]
	v_mov_b32_e32 v19, 0
	s_movk_i32 s6, 0x1388
	s_mov_b32 s7, 0xbc8f1391
	s_mov_b32 s8, 0xbc8f
	s_brev_b32 s9, 12
	s_mov_b32 s14, 0xf800000
	v_mov_b32_e32 v7, 0x260
.LBB31_233:                             ; =>This Inner Loop Header: Depth=1
	v_mul_hi_u32 v9, v8, s7
	v_add_f32_e32 v10, 1.0, v19
	s_add_i32 s6, s6, -2
	s_cmp_lg_u32 s6, 0
	v_lshrrev_b32_e32 v9, 15, v9
	v_mul_u32_u24_e32 v11, 0xadc8, v9
	v_sub_u32_e32 v8, v8, v11
	v_mul_lo_u32 v8, v8, s8
	v_mul_u32_u24_e32 v9, 0xd47, v9
	v_xor_b32_e32 v11, 0x7fffffff, v9
	v_sub_u32_e32 v12, 0, v9
	v_cmp_lt_u32_e32 vcc, v8, v9
	v_cndmask_b32_e32 v9, v12, v11, vcc
	v_add_u32_e32 v8, v9, v8
	v_mul_hi_u32 v11, v8, s7
	v_add_u32_e32 v9, -1, v8
	v_cvt_f32_u32_e32 v9, v9
	v_lshrrev_b32_e32 v11, 15, v11
	v_mul_u32_u24_e32 v12, 0xadc8, v11
	v_sub_u32_e32 v8, v8, v12
	v_mul_lo_u32 v8, v8, s8
	v_mul_u32_u24_e32 v11, 0xd47, v11
	v_xor_b32_e32 v12, 0x7fffffff, v11
	v_sub_u32_e32 v20, 0, v11
	v_cmp_lt_u32_e32 vcc, v8, v11
	v_cndmask_b32_e32 v11, v20, v12, vcc
	v_add_u32_e32 v8, v11, v8
	v_mul_hi_u32 v12, v8, s7
	v_add_u32_e32 v11, -1, v8
	v_cvt_f32_u32_e32 v11, v11
	v_fma_f32 v9, v9, s9, 0
	v_lshrrev_b32_e32 v12, 15, v12
	v_mul_u32_u24_e32 v20, 0xadc8, v12
	v_fma_f32 v11, v11, s9, 0
	v_sub_u32_e32 v8, v8, v20
	v_mul_f32_e32 v11, v11, v11
	v_mul_lo_u32 v8, v8, s8
	v_fmac_f32_e32 v11, v9, v9
	v_mul_f32_e32 v9, 0x4f800000, v11
	v_cmp_gt_f32_e32 vcc, s14, v11
	v_mul_u32_u24_e32 v12, 0xd47, v12
	v_cndmask_b32_e32 v9, v11, v9, vcc
	v_xor_b32_e32 v20, 0x7fffffff, v12
	v_sub_u32_e32 v21, 0, v12
	v_sqrt_f32_e32 v11, v9
	v_cmp_lt_u32_e64 s[4:5], v8, v12
	v_cndmask_b32_e64 v12, v21, v20, s[4:5]
	v_add_u32_e32 v8, v12, v8
	v_mul_hi_u32 v20, v8, s7
	v_add_u32_e32 v21, -1, v11
	v_add_u32_e32 v22, 1, v11
	v_fma_f32 v23, -v21, v11, v9
	v_fma_f32 v24, -v22, v11, v9
	v_cmp_ge_f32_e64 s[4:5], 0, v23
	v_cndmask_b32_e64 v11, v11, v21, s[4:5]
	v_cmp_lt_f32_e64 s[4:5], 0, v24
	v_lshrrev_b32_e32 v20, 15, v20
	v_cndmask_b32_e64 v11, v11, v22, s[4:5]
	v_mul_u32_u24_e32 v22, 0xadc8, v20
	v_add_u32_e32 v12, -1, v8
	v_sub_u32_e32 v8, v8, v22
	v_mul_f32_e32 v21, 0x37800000, v11
	v_mul_lo_u32 v8, v8, s8
	v_cndmask_b32_e32 v11, v11, v21, vcc
	v_cmp_class_f32_e32 vcc, v9, v7
	v_cndmask_b32_e32 v9, v11, v9, vcc
	v_mul_u32_u24_e32 v20, 0xd47, v20
	v_cmp_nge_f32_e32 vcc, 1.0, v9
	v_xor_b32_e32 v21, 0x7fffffff, v20
	v_sub_u32_e32 v22, 0, v20
	v_cndmask_b32_e32 v9, v10, v19, vcc
	v_cmp_lt_u32_e32 vcc, v8, v20
	v_cndmask_b32_e32 v11, v22, v21, vcc
	v_add_u32_e32 v8, v11, v8
	v_add_u32_e32 v11, -1, v8
	v_cvt_f32_u32_e32 v11, v11
	v_cvt_f32_u32_e32 v12, v12
	v_add_f32_e32 v10, 1.0, v9
	v_fma_f32 v11, v11, s9, 0
	v_fma_f32 v12, v12, s9, 0
	v_mul_f32_e32 v11, v11, v11
	v_fmac_f32_e32 v11, v12, v12
	v_mul_f32_e32 v12, 0x4f800000, v11
	v_cmp_gt_f32_e32 vcc, s14, v11
	v_cndmask_b32_e32 v11, v11, v12, vcc
	v_sqrt_f32_e32 v12, v11
	v_add_u32_e32 v19, -1, v12
	v_add_u32_e32 v20, 1, v12
	v_fma_f32 v21, -v19, v12, v11
	v_fma_f32 v22, -v20, v12, v11
	v_cmp_ge_f32_e64 s[4:5], 0, v21
	v_cndmask_b32_e64 v12, v12, v19, s[4:5]
	v_cmp_lt_f32_e64 s[4:5], 0, v22
	v_cndmask_b32_e64 v12, v12, v20, s[4:5]
	v_mul_f32_e32 v19, 0x37800000, v12
	v_cndmask_b32_e32 v12, v12, v19, vcc
	v_cmp_class_f32_e32 vcc, v11, v7
	v_cndmask_b32_e32 v11, v12, v11, vcc
	v_cmp_nge_f32_e32 vcc, 1.0, v11
	v_cndmask_b32_e32 v19, v10, v9, vcc
	s_cbranch_scc1 .LBB31_233
; %bb.234:
	v_add_u32_e32 v7, 0x61a800, v6
	v_cmp_ne_u32_e32 vcc, 0, v7
	v_mov_b32_e32 v8, 1
	s_and_saveexec_b64 s[4:5], vcc
	s_cbranch_execz .LBB31_256
; %bb.235:
	v_mov_b32_e32 v8, 0
	v_mov_b32_e32 v11, 1
	;; [unrolled: 1-line block ×3, first 2 shown]
	s_mov_b64 s[8:9], 0xbc8f
	v_mov_b32_e32 v12, 0
	s_mov_b64 s[6:7], 0
	s_brev_b32 s17, -2
	v_mov_b32_e32 v9, v7
	s_branch .LBB31_237
.LBB31_236:                             ;   in Loop: Header=BB31_237 Depth=1
	s_or_b64 exec, exec, s[14:15]
	s_mul_i32 s9, s8, s9
	s_mul_hi_u32 s14, s8, s8
	s_add_i32 s14, s14, s9
	s_add_i32 s14, s14, s9
	s_mul_i32 s15, s8, s8
	s_mul_i32 s9, s14, 3
	s_mul_hi_u32 s18, s15, 3
	s_mul_hi_u32 s8, s14, 3
	s_add_u32 s9, s9, s18
	s_addc_u32 s8, s8, 0
	s_mul_i32 s19, s15, 0x80000001
	s_mul_hi_u32 s18, s15, 0x80000001
	s_add_u32 s9, s19, s9
	s_addc_u32 s9, s18, 0
	s_add_u32 s8, s8, s9
	s_addc_u32 s9, 0, 0
	s_mul_i32 s19, s14, 0x80000001
	s_mul_hi_u32 s18, s14, 0x80000001
	s_add_u32 s8, s19, s8
	s_addc_u32 s9, s18, s9
	s_lshr_b32 s18, s9, 30
	s_lshr_b64 s[8:9], s[8:9], 30
	s_mul_i32 s18, s18, 0x7fffffff
	s_mul_hi_u32 s9, s8, 0x7fffffff
	v_lshrrev_b64 v[20:21], 1, v[9:10]
	s_add_i32 s9, s9, s18
	s_mul_i32 s8, s8, 0x7fffffff
	s_sub_u32 s8, s15, s8
	v_cmp_gt_u64_e32 vcc, 2, v[9:10]
	s_subb_u32 s9, s14, s9
	v_mov_b32_e32 v9, v20
	s_or_b64 s[6:7], vcc, s[6:7]
	v_mov_b32_e32 v10, v21
	s_andn2_b64 exec, exec, s[6:7]
	s_cbranch_execz .LBB31_255
.LBB31_237:                             ; =>This Inner Loop Header: Depth=1
	v_and_b32_e32 v7, 1, v9
	v_cmp_eq_u32_e32 vcc, 1, v7
	s_and_saveexec_b64 s[14:15], vcc
	s_cbranch_execz .LBB31_236
; %bb.238:                              ;   in Loop: Header=BB31_237 Depth=1
	v_mad_u64_u32 v[20:21], s[18:19], s8, v11, 0
	v_mul_lo_u32 v11, s9, v11
	v_mul_lo_u32 v12, s8, v12
	v_mul_hi_u32 v7, v20, 5
	v_add3_u32 v23, v21, v12, v11
	v_mad_u64_u32 v[11:12], s[18:19], v23, 5, v[7:8]
	v_mov_b32_e32 v7, v11
	v_mad_u64_u32 v[21:22], s[18:19], v20, 2, v[7:8]
	v_add_co_u32_e32 v11, vcc, v12, v22
	v_addc_co_u32_e64 v12, s[18:19], 0, 0, vcc
	v_mad_u64_u32 v[11:12], s[18:19], v23, 2, v[11:12]
	v_sub_co_u32_e32 v21, vcc, v20, v11
	v_subb_co_u32_e32 v22, vcc, v23, v12, vcc
	v_lshrrev_b64 v[21:22], 1, v[21:22]
	v_add_co_u32_e32 v7, vcc, v21, v11
	v_addc_co_u32_e32 v21, vcc, v22, v12, vcc
	v_alignbit_b32 v7, v21, v7, 30
	v_mad_u64_u32 v[11:12], s[18:19], v7, s17, 0
	v_lshrrev_b32_e32 v21, 30, v21
	v_mov_b32_e32 v7, v12
	v_mad_u64_u32 v[21:22], s[18:19], v21, s17, v[7:8]
	v_sub_co_u32_e32 v11, vcc, v20, v11
	v_subb_co_u32_e32 v12, vcc, v23, v21, vcc
	s_branch .LBB31_236
.LBB31_239:
	s_or_b64 exec, exec, s[6:7]
	v_add_u32_e32 v7, 0x80000001, v11
	v_min_u32_e32 v7, v7, v11
	v_add_u32_e32 v8, 0x80000001, v7
	v_min_u32_e32 v8, v8, v7
.LBB31_240:
	s_or_b64 exec, exec, s[4:5]
	v_mov_b32_e32 v19, 0
	s_movk_i32 s6, 0x1388
	s_mov_b32 s7, 0xbc8f1391
	s_mov_b32 s8, 0xbc8f
	s_brev_b32 s9, 12
	s_mov_b32 s14, 0xf800000
	v_mov_b32_e32 v7, 0x260
.LBB31_241:                             ; =>This Inner Loop Header: Depth=1
	v_mul_hi_u32 v9, v8, s7
	v_add_f32_e32 v10, 1.0, v19
	s_add_i32 s6, s6, -2
	s_cmp_lg_u32 s6, 0
	v_lshrrev_b32_e32 v9, 15, v9
	v_mul_u32_u24_e32 v11, 0xadc8, v9
	v_sub_u32_e32 v8, v8, v11
	v_mul_lo_u32 v8, v8, s8
	v_mul_u32_u24_e32 v9, 0xd47, v9
	v_xor_b32_e32 v11, 0x7fffffff, v9
	v_sub_u32_e32 v12, 0, v9
	v_cmp_lt_u32_e32 vcc, v8, v9
	v_cndmask_b32_e32 v9, v12, v11, vcc
	v_add_u32_e32 v8, v9, v8
	v_mul_hi_u32 v11, v8, s7
	v_add_u32_e32 v9, -1, v8
	v_cvt_f32_u32_e32 v9, v9
	v_lshrrev_b32_e32 v11, 15, v11
	v_mul_u32_u24_e32 v12, 0xadc8, v11
	v_sub_u32_e32 v8, v8, v12
	v_mul_lo_u32 v8, v8, s8
	v_mul_u32_u24_e32 v11, 0xd47, v11
	v_xor_b32_e32 v12, 0x7fffffff, v11
	v_sub_u32_e32 v20, 0, v11
	v_cmp_lt_u32_e32 vcc, v8, v11
	v_cndmask_b32_e32 v11, v20, v12, vcc
	v_add_u32_e32 v8, v11, v8
	v_mul_hi_u32 v12, v8, s7
	v_add_u32_e32 v11, -1, v8
	v_cvt_f32_u32_e32 v11, v11
	v_fma_f32 v9, v9, s9, 0
	v_lshrrev_b32_e32 v12, 15, v12
	v_mul_u32_u24_e32 v20, 0xadc8, v12
	v_fma_f32 v11, v11, s9, 0
	v_sub_u32_e32 v8, v8, v20
	v_mul_f32_e32 v11, v11, v11
	v_mul_lo_u32 v8, v8, s8
	v_fmac_f32_e32 v11, v9, v9
	v_mul_f32_e32 v9, 0x4f800000, v11
	v_cmp_gt_f32_e32 vcc, s14, v11
	v_mul_u32_u24_e32 v12, 0xd47, v12
	v_cndmask_b32_e32 v9, v11, v9, vcc
	v_xor_b32_e32 v20, 0x7fffffff, v12
	v_sub_u32_e32 v21, 0, v12
	v_sqrt_f32_e32 v11, v9
	v_cmp_lt_u32_e64 s[4:5], v8, v12
	v_cndmask_b32_e64 v12, v21, v20, s[4:5]
	v_add_u32_e32 v8, v12, v8
	v_mul_hi_u32 v20, v8, s7
	v_add_u32_e32 v21, -1, v11
	v_add_u32_e32 v22, 1, v11
	v_fma_f32 v23, -v21, v11, v9
	v_fma_f32 v24, -v22, v11, v9
	v_cmp_ge_f32_e64 s[4:5], 0, v23
	v_cndmask_b32_e64 v11, v11, v21, s[4:5]
	v_cmp_lt_f32_e64 s[4:5], 0, v24
	v_lshrrev_b32_e32 v20, 15, v20
	v_cndmask_b32_e64 v11, v11, v22, s[4:5]
	v_mul_u32_u24_e32 v22, 0xadc8, v20
	v_add_u32_e32 v12, -1, v8
	v_sub_u32_e32 v8, v8, v22
	v_mul_f32_e32 v21, 0x37800000, v11
	v_mul_lo_u32 v8, v8, s8
	v_cndmask_b32_e32 v11, v11, v21, vcc
	v_cmp_class_f32_e32 vcc, v9, v7
	v_cndmask_b32_e32 v9, v11, v9, vcc
	v_mul_u32_u24_e32 v20, 0xd47, v20
	v_cmp_nge_f32_e32 vcc, 1.0, v9
	v_xor_b32_e32 v21, 0x7fffffff, v20
	v_sub_u32_e32 v22, 0, v20
	v_cndmask_b32_e32 v9, v10, v19, vcc
	v_cmp_lt_u32_e32 vcc, v8, v20
	v_cndmask_b32_e32 v11, v22, v21, vcc
	v_add_u32_e32 v8, v11, v8
	v_add_u32_e32 v11, -1, v8
	v_cvt_f32_u32_e32 v11, v11
	v_cvt_f32_u32_e32 v12, v12
	v_add_f32_e32 v10, 1.0, v9
	v_fma_f32 v11, v11, s9, 0
	v_fma_f32 v12, v12, s9, 0
	v_mul_f32_e32 v11, v11, v11
	v_fmac_f32_e32 v11, v12, v12
	v_mul_f32_e32 v12, 0x4f800000, v11
	v_cmp_gt_f32_e32 vcc, s14, v11
	v_cndmask_b32_e32 v11, v11, v12, vcc
	v_sqrt_f32_e32 v12, v11
	v_add_u32_e32 v19, -1, v12
	v_add_u32_e32 v20, 1, v12
	v_fma_f32 v21, -v19, v12, v11
	v_fma_f32 v22, -v20, v12, v11
	v_cmp_ge_f32_e64 s[4:5], 0, v21
	v_cndmask_b32_e64 v12, v12, v19, s[4:5]
	v_cmp_lt_f32_e64 s[4:5], 0, v22
	v_cndmask_b32_e64 v12, v12, v20, s[4:5]
	v_mul_f32_e32 v19, 0x37800000, v12
	v_cndmask_b32_e32 v12, v12, v19, vcc
	v_cmp_class_f32_e32 vcc, v11, v7
	v_cndmask_b32_e32 v11, v12, v11, vcc
	v_cmp_nge_f32_e32 vcc, 1.0, v11
	v_cndmask_b32_e32 v19, v10, v9, vcc
	s_cbranch_scc1 .LBB31_241
; %bb.242:
	v_add_u32_e32 v7, 0x61a800, v6
	v_cmp_ne_u32_e32 vcc, 0, v7
	v_mov_b32_e32 v8, 1
	s_and_saveexec_b64 s[4:5], vcc
	s_cbranch_execz .LBB31_264
; %bb.243:
	v_mov_b32_e32 v8, 0
	v_mov_b32_e32 v11, 1
	;; [unrolled: 1-line block ×3, first 2 shown]
	s_mov_b64 s[8:9], 0xbc8f
	v_mov_b32_e32 v12, 0
	s_mov_b64 s[6:7], 0
	s_brev_b32 s17, -2
	v_mov_b32_e32 v9, v7
	s_branch .LBB31_245
.LBB31_244:                             ;   in Loop: Header=BB31_245 Depth=1
	s_or_b64 exec, exec, s[14:15]
	s_mul_i32 s9, s8, s9
	s_mul_hi_u32 s14, s8, s8
	s_add_i32 s14, s14, s9
	s_add_i32 s14, s14, s9
	s_mul_i32 s15, s8, s8
	s_mul_i32 s9, s14, 3
	s_mul_hi_u32 s18, s15, 3
	s_mul_hi_u32 s8, s14, 3
	s_add_u32 s9, s9, s18
	s_addc_u32 s8, s8, 0
	s_mul_i32 s19, s15, 0x80000001
	s_mul_hi_u32 s18, s15, 0x80000001
	s_add_u32 s9, s19, s9
	s_addc_u32 s9, s18, 0
	s_add_u32 s8, s8, s9
	s_addc_u32 s9, 0, 0
	s_mul_i32 s19, s14, 0x80000001
	s_mul_hi_u32 s18, s14, 0x80000001
	s_add_u32 s8, s19, s8
	s_addc_u32 s9, s18, s9
	s_lshr_b32 s18, s9, 30
	s_lshr_b64 s[8:9], s[8:9], 30
	s_mul_i32 s18, s18, 0x7fffffff
	s_mul_hi_u32 s9, s8, 0x7fffffff
	v_lshrrev_b64 v[20:21], 1, v[9:10]
	s_add_i32 s9, s9, s18
	s_mul_i32 s8, s8, 0x7fffffff
	s_sub_u32 s8, s15, s8
	v_cmp_gt_u64_e32 vcc, 2, v[9:10]
	s_subb_u32 s9, s14, s9
	v_mov_b32_e32 v9, v20
	s_or_b64 s[6:7], vcc, s[6:7]
	v_mov_b32_e32 v10, v21
	s_andn2_b64 exec, exec, s[6:7]
	s_cbranch_execz .LBB31_263
.LBB31_245:                             ; =>This Inner Loop Header: Depth=1
	v_and_b32_e32 v7, 1, v9
	v_cmp_eq_u32_e32 vcc, 1, v7
	s_and_saveexec_b64 s[14:15], vcc
	s_cbranch_execz .LBB31_244
; %bb.246:                              ;   in Loop: Header=BB31_245 Depth=1
	v_mad_u64_u32 v[20:21], s[18:19], s8, v11, 0
	v_mul_lo_u32 v11, s9, v11
	v_mul_lo_u32 v12, s8, v12
	v_mul_hi_u32 v7, v20, 5
	v_add3_u32 v23, v21, v12, v11
	v_mad_u64_u32 v[11:12], s[18:19], v23, 5, v[7:8]
	v_mov_b32_e32 v7, v11
	v_mad_u64_u32 v[21:22], s[18:19], v20, 2, v[7:8]
	v_add_co_u32_e32 v11, vcc, v12, v22
	v_addc_co_u32_e64 v12, s[18:19], 0, 0, vcc
	v_mad_u64_u32 v[11:12], s[18:19], v23, 2, v[11:12]
	v_sub_co_u32_e32 v21, vcc, v20, v11
	v_subb_co_u32_e32 v22, vcc, v23, v12, vcc
	v_lshrrev_b64 v[21:22], 1, v[21:22]
	v_add_co_u32_e32 v7, vcc, v21, v11
	v_addc_co_u32_e32 v21, vcc, v22, v12, vcc
	v_alignbit_b32 v7, v21, v7, 30
	v_mad_u64_u32 v[11:12], s[18:19], v7, s17, 0
	v_lshrrev_b32_e32 v21, 30, v21
	v_mov_b32_e32 v7, v12
	v_mad_u64_u32 v[21:22], s[18:19], v21, s17, v[7:8]
	v_sub_co_u32_e32 v11, vcc, v20, v11
	v_subb_co_u32_e32 v12, vcc, v23, v21, vcc
	s_branch .LBB31_244
.LBB31_247:
	s_or_b64 exec, exec, s[6:7]
	v_add_u32_e32 v5, 0x80000001, v9
	v_min_u32_e32 v5, v5, v9
	v_add_u32_e32 v6, 0x80000001, v5
	v_min_u32_e32 v6, v6, v5
.LBB31_248:
	s_or_b64 exec, exec, s[4:5]
	v_mov_b32_e32 v17, 0
	s_movk_i32 s6, 0x1388
	s_mov_b32 s7, 0xbc8f1391
	s_mov_b32 s8, 0xbc8f
	s_brev_b32 s9, 12
	s_mov_b32 s14, 0xf800000
	v_mov_b32_e32 v5, 0x260
.LBB31_249:                             ; =>This Inner Loop Header: Depth=1
	v_mul_hi_u32 v7, v6, s7
	v_add_f32_e32 v8, 1.0, v17
	s_add_i32 s6, s6, -2
	s_cmp_lg_u32 s6, 0
	v_lshrrev_b32_e32 v7, 15, v7
	v_mul_u32_u24_e32 v9, 0xadc8, v7
	v_sub_u32_e32 v6, v6, v9
	v_mul_lo_u32 v6, v6, s8
	v_mul_u32_u24_e32 v7, 0xd47, v7
	v_xor_b32_e32 v9, 0x7fffffff, v7
	v_sub_u32_e32 v10, 0, v7
	v_cmp_lt_u32_e32 vcc, v6, v7
	v_cndmask_b32_e32 v7, v10, v9, vcc
	v_add_u32_e32 v6, v7, v6
	v_mul_hi_u32 v9, v6, s7
	v_add_u32_e32 v7, -1, v6
	v_cvt_f32_u32_e32 v7, v7
	v_lshrrev_b32_e32 v9, 15, v9
	v_mul_u32_u24_e32 v10, 0xadc8, v9
	v_sub_u32_e32 v6, v6, v10
	v_mul_lo_u32 v6, v6, s8
	v_mul_u32_u24_e32 v9, 0xd47, v9
	v_xor_b32_e32 v10, 0x7fffffff, v9
	v_sub_u32_e32 v18, 0, v9
	v_cmp_lt_u32_e32 vcc, v6, v9
	v_cndmask_b32_e32 v9, v18, v10, vcc
	v_add_u32_e32 v6, v9, v6
	v_mul_hi_u32 v10, v6, s7
	v_add_u32_e32 v9, -1, v6
	v_cvt_f32_u32_e32 v9, v9
	v_fma_f32 v7, v7, s9, 0
	v_lshrrev_b32_e32 v10, 15, v10
	v_mul_u32_u24_e32 v18, 0xadc8, v10
	v_fma_f32 v9, v9, s9, 0
	v_sub_u32_e32 v6, v6, v18
	v_mul_f32_e32 v9, v9, v9
	v_mul_lo_u32 v6, v6, s8
	v_fmac_f32_e32 v9, v7, v7
	v_mul_f32_e32 v7, 0x4f800000, v9
	v_cmp_gt_f32_e32 vcc, s14, v9
	v_mul_u32_u24_e32 v10, 0xd47, v10
	v_cndmask_b32_e32 v7, v9, v7, vcc
	v_xor_b32_e32 v18, 0x7fffffff, v10
	v_sub_u32_e32 v19, 0, v10
	v_sqrt_f32_e32 v9, v7
	v_cmp_lt_u32_e64 s[4:5], v6, v10
	v_cndmask_b32_e64 v10, v19, v18, s[4:5]
	v_add_u32_e32 v6, v10, v6
	v_mul_hi_u32 v18, v6, s7
	v_add_u32_e32 v19, -1, v9
	v_add_u32_e32 v20, 1, v9
	v_fma_f32 v21, -v19, v9, v7
	v_fma_f32 v22, -v20, v9, v7
	v_cmp_ge_f32_e64 s[4:5], 0, v21
	v_cndmask_b32_e64 v9, v9, v19, s[4:5]
	v_cmp_lt_f32_e64 s[4:5], 0, v22
	v_lshrrev_b32_e32 v18, 15, v18
	v_cndmask_b32_e64 v9, v9, v20, s[4:5]
	v_mul_u32_u24_e32 v20, 0xadc8, v18
	v_add_u32_e32 v10, -1, v6
	v_sub_u32_e32 v6, v6, v20
	v_mul_f32_e32 v19, 0x37800000, v9
	v_mul_lo_u32 v6, v6, s8
	v_cndmask_b32_e32 v9, v9, v19, vcc
	v_cmp_class_f32_e32 vcc, v7, v5
	v_cndmask_b32_e32 v7, v9, v7, vcc
	v_mul_u32_u24_e32 v18, 0xd47, v18
	v_cmp_nge_f32_e32 vcc, 1.0, v7
	v_xor_b32_e32 v19, 0x7fffffff, v18
	v_sub_u32_e32 v20, 0, v18
	v_cndmask_b32_e32 v7, v8, v17, vcc
	v_cmp_lt_u32_e32 vcc, v6, v18
	v_cndmask_b32_e32 v9, v20, v19, vcc
	v_add_u32_e32 v6, v9, v6
	v_add_u32_e32 v9, -1, v6
	v_cvt_f32_u32_e32 v9, v9
	v_cvt_f32_u32_e32 v10, v10
	v_add_f32_e32 v8, 1.0, v7
	v_fma_f32 v9, v9, s9, 0
	v_fma_f32 v10, v10, s9, 0
	v_mul_f32_e32 v9, v9, v9
	v_fmac_f32_e32 v9, v10, v10
	v_mul_f32_e32 v10, 0x4f800000, v9
	v_cmp_gt_f32_e32 vcc, s14, v9
	v_cndmask_b32_e32 v9, v9, v10, vcc
	v_sqrt_f32_e32 v10, v9
	v_add_u32_e32 v17, -1, v10
	v_add_u32_e32 v18, 1, v10
	v_fma_f32 v19, -v17, v10, v9
	v_fma_f32 v20, -v18, v10, v9
	v_cmp_ge_f32_e64 s[4:5], 0, v19
	v_cndmask_b32_e64 v10, v10, v17, s[4:5]
	v_cmp_lt_f32_e64 s[4:5], 0, v20
	v_cndmask_b32_e64 v10, v10, v18, s[4:5]
	v_mul_f32_e32 v17, 0x37800000, v10
	v_cndmask_b32_e32 v10, v10, v17, vcc
	v_cmp_class_f32_e32 vcc, v9, v5
	v_cndmask_b32_e32 v9, v10, v9, vcc
	v_cmp_nge_f32_e32 vcc, 1.0, v9
	v_cndmask_b32_e32 v17, v8, v7, vcc
	s_cbranch_scc1 .LBB31_249
; %bb.250:
	v_add_u32_e32 v5, 0x61a800, v4
	v_cmp_ne_u32_e32 vcc, 0, v5
	v_mov_b32_e32 v6, 1
	s_and_saveexec_b64 s[4:5], vcc
	s_cbranch_execz .LBB31_272
; %bb.251:
	v_mov_b32_e32 v6, 0
	v_mov_b32_e32 v9, 1
	;; [unrolled: 1-line block ×3, first 2 shown]
	s_mov_b64 s[8:9], 0xbc8f
	v_mov_b32_e32 v10, 0
	s_mov_b64 s[6:7], 0
	s_brev_b32 s17, -2
	v_mov_b32_e32 v7, v5
	s_branch .LBB31_253
.LBB31_252:                             ;   in Loop: Header=BB31_253 Depth=1
	s_or_b64 exec, exec, s[14:15]
	s_mul_i32 s9, s8, s9
	s_mul_hi_u32 s14, s8, s8
	s_add_i32 s14, s14, s9
	s_add_i32 s14, s14, s9
	s_mul_i32 s15, s8, s8
	s_mul_i32 s9, s14, 3
	s_mul_hi_u32 s18, s15, 3
	s_mul_hi_u32 s8, s14, 3
	s_add_u32 s9, s9, s18
	s_addc_u32 s8, s8, 0
	s_mul_i32 s19, s15, 0x80000001
	s_mul_hi_u32 s18, s15, 0x80000001
	s_add_u32 s9, s19, s9
	s_addc_u32 s9, s18, 0
	s_add_u32 s8, s8, s9
	s_addc_u32 s9, 0, 0
	s_mul_i32 s19, s14, 0x80000001
	s_mul_hi_u32 s18, s14, 0x80000001
	s_add_u32 s8, s19, s8
	s_addc_u32 s9, s18, s9
	s_lshr_b32 s18, s9, 30
	s_lshr_b64 s[8:9], s[8:9], 30
	s_mul_i32 s18, s18, 0x7fffffff
	s_mul_hi_u32 s9, s8, 0x7fffffff
	v_lshrrev_b64 v[18:19], 1, v[7:8]
	s_add_i32 s9, s9, s18
	s_mul_i32 s8, s8, 0x7fffffff
	s_sub_u32 s8, s15, s8
	v_cmp_gt_u64_e32 vcc, 2, v[7:8]
	s_subb_u32 s9, s14, s9
	v_mov_b32_e32 v7, v18
	s_or_b64 s[6:7], vcc, s[6:7]
	v_mov_b32_e32 v8, v19
	s_andn2_b64 exec, exec, s[6:7]
	s_cbranch_execz .LBB31_271
.LBB31_253:                             ; =>This Inner Loop Header: Depth=1
	v_and_b32_e32 v5, 1, v7
	v_cmp_eq_u32_e32 vcc, 1, v5
	s_and_saveexec_b64 s[14:15], vcc
	s_cbranch_execz .LBB31_252
; %bb.254:                              ;   in Loop: Header=BB31_253 Depth=1
	v_mad_u64_u32 v[18:19], s[18:19], s8, v9, 0
	v_mul_lo_u32 v9, s9, v9
	v_mul_lo_u32 v10, s8, v10
	v_mul_hi_u32 v5, v18, 5
	v_add3_u32 v21, v19, v10, v9
	v_mad_u64_u32 v[9:10], s[18:19], v21, 5, v[5:6]
	v_mov_b32_e32 v5, v9
	v_mad_u64_u32 v[19:20], s[18:19], v18, 2, v[5:6]
	v_add_co_u32_e32 v9, vcc, v10, v20
	v_addc_co_u32_e64 v10, s[18:19], 0, 0, vcc
	v_mad_u64_u32 v[9:10], s[18:19], v21, 2, v[9:10]
	v_sub_co_u32_e32 v19, vcc, v18, v9
	v_subb_co_u32_e32 v20, vcc, v21, v10, vcc
	v_lshrrev_b64 v[19:20], 1, v[19:20]
	v_add_co_u32_e32 v5, vcc, v19, v9
	v_addc_co_u32_e32 v19, vcc, v20, v10, vcc
	v_alignbit_b32 v5, v19, v5, 30
	v_mad_u64_u32 v[9:10], s[18:19], v5, s17, 0
	v_lshrrev_b32_e32 v19, 30, v19
	v_mov_b32_e32 v5, v10
	v_mad_u64_u32 v[19:20], s[18:19], v19, s17, v[5:6]
	v_sub_co_u32_e32 v9, vcc, v18, v9
	v_subb_co_u32_e32 v10, vcc, v21, v19, vcc
	s_branch .LBB31_252
.LBB31_255:
	s_or_b64 exec, exec, s[6:7]
	v_add_u32_e32 v7, 0x80000001, v11
	v_min_u32_e32 v7, v7, v11
	v_add_u32_e32 v8, 0x80000001, v7
	v_min_u32_e32 v8, v8, v7
.LBB31_256:
	s_or_b64 exec, exec, s[4:5]
	v_mov_b32_e32 v20, 0
	s_movk_i32 s6, 0x1388
	s_mov_b32 s7, 0xbc8f1391
	s_mov_b32 s8, 0xbc8f
	s_brev_b32 s9, 12
	s_mov_b32 s14, 0xf800000
	v_mov_b32_e32 v7, 0x260
.LBB31_257:                             ; =>This Inner Loop Header: Depth=1
	v_mul_hi_u32 v9, v8, s7
	v_add_f32_e32 v10, 1.0, v20
	s_add_i32 s6, s6, -2
	s_cmp_lg_u32 s6, 0
	v_lshrrev_b32_e32 v9, 15, v9
	v_mul_u32_u24_e32 v11, 0xadc8, v9
	v_sub_u32_e32 v8, v8, v11
	v_mul_lo_u32 v8, v8, s8
	v_mul_u32_u24_e32 v9, 0xd47, v9
	v_xor_b32_e32 v11, 0x7fffffff, v9
	v_sub_u32_e32 v12, 0, v9
	v_cmp_lt_u32_e32 vcc, v8, v9
	v_cndmask_b32_e32 v9, v12, v11, vcc
	v_add_u32_e32 v8, v9, v8
	v_mul_hi_u32 v11, v8, s7
	v_add_u32_e32 v9, -1, v8
	v_cvt_f32_u32_e32 v9, v9
	v_lshrrev_b32_e32 v11, 15, v11
	v_mul_u32_u24_e32 v12, 0xadc8, v11
	v_sub_u32_e32 v8, v8, v12
	v_mul_lo_u32 v8, v8, s8
	v_mul_u32_u24_e32 v11, 0xd47, v11
	v_xor_b32_e32 v12, 0x7fffffff, v11
	v_sub_u32_e32 v21, 0, v11
	v_cmp_lt_u32_e32 vcc, v8, v11
	v_cndmask_b32_e32 v11, v21, v12, vcc
	v_add_u32_e32 v8, v11, v8
	v_mul_hi_u32 v12, v8, s7
	v_add_u32_e32 v11, -1, v8
	v_cvt_f32_u32_e32 v11, v11
	v_fma_f32 v9, v9, s9, 0
	v_lshrrev_b32_e32 v12, 15, v12
	v_mul_u32_u24_e32 v21, 0xadc8, v12
	v_fma_f32 v11, v11, s9, 0
	v_sub_u32_e32 v8, v8, v21
	v_mul_f32_e32 v11, v11, v11
	v_mul_lo_u32 v8, v8, s8
	v_fmac_f32_e32 v11, v9, v9
	v_mul_f32_e32 v9, 0x4f800000, v11
	v_cmp_gt_f32_e32 vcc, s14, v11
	v_mul_u32_u24_e32 v12, 0xd47, v12
	v_cndmask_b32_e32 v9, v11, v9, vcc
	v_xor_b32_e32 v21, 0x7fffffff, v12
	v_sub_u32_e32 v22, 0, v12
	v_sqrt_f32_e32 v11, v9
	v_cmp_lt_u32_e64 s[4:5], v8, v12
	v_cndmask_b32_e64 v12, v22, v21, s[4:5]
	v_add_u32_e32 v8, v12, v8
	v_mul_hi_u32 v21, v8, s7
	v_add_u32_e32 v22, -1, v11
	v_add_u32_e32 v23, 1, v11
	v_fma_f32 v24, -v22, v11, v9
	v_fma_f32 v25, -v23, v11, v9
	v_cmp_ge_f32_e64 s[4:5], 0, v24
	v_cndmask_b32_e64 v11, v11, v22, s[4:5]
	v_cmp_lt_f32_e64 s[4:5], 0, v25
	v_lshrrev_b32_e32 v21, 15, v21
	v_cndmask_b32_e64 v11, v11, v23, s[4:5]
	v_mul_u32_u24_e32 v23, 0xadc8, v21
	v_add_u32_e32 v12, -1, v8
	v_sub_u32_e32 v8, v8, v23
	v_mul_f32_e32 v22, 0x37800000, v11
	v_mul_lo_u32 v8, v8, s8
	v_cndmask_b32_e32 v11, v11, v22, vcc
	v_cmp_class_f32_e32 vcc, v9, v7
	v_cndmask_b32_e32 v9, v11, v9, vcc
	v_mul_u32_u24_e32 v21, 0xd47, v21
	v_cmp_nge_f32_e32 vcc, 1.0, v9
	v_xor_b32_e32 v22, 0x7fffffff, v21
	v_sub_u32_e32 v23, 0, v21
	v_cndmask_b32_e32 v9, v10, v20, vcc
	v_cmp_lt_u32_e32 vcc, v8, v21
	v_cndmask_b32_e32 v11, v23, v22, vcc
	v_add_u32_e32 v8, v11, v8
	v_add_u32_e32 v11, -1, v8
	v_cvt_f32_u32_e32 v11, v11
	v_cvt_f32_u32_e32 v12, v12
	v_add_f32_e32 v10, 1.0, v9
	v_fma_f32 v11, v11, s9, 0
	v_fma_f32 v12, v12, s9, 0
	v_mul_f32_e32 v11, v11, v11
	v_fmac_f32_e32 v11, v12, v12
	v_mul_f32_e32 v12, 0x4f800000, v11
	v_cmp_gt_f32_e32 vcc, s14, v11
	v_cndmask_b32_e32 v11, v11, v12, vcc
	v_sqrt_f32_e32 v12, v11
	v_add_u32_e32 v20, -1, v12
	v_add_u32_e32 v21, 1, v12
	v_fma_f32 v22, -v20, v12, v11
	v_fma_f32 v23, -v21, v12, v11
	v_cmp_ge_f32_e64 s[4:5], 0, v22
	v_cndmask_b32_e64 v12, v12, v20, s[4:5]
	v_cmp_lt_f32_e64 s[4:5], 0, v23
	v_cndmask_b32_e64 v12, v12, v21, s[4:5]
	v_mul_f32_e32 v20, 0x37800000, v12
	v_cndmask_b32_e32 v12, v12, v20, vcc
	v_cmp_class_f32_e32 vcc, v11, v7
	v_cndmask_b32_e32 v11, v12, v11, vcc
	v_cmp_nge_f32_e32 vcc, 1.0, v11
	v_cndmask_b32_e32 v20, v10, v9, vcc
	s_cbranch_scc1 .LBB31_257
; %bb.258:
	v_add_u32_e32 v7, 0x753000, v6
	v_cmp_ne_u32_e32 vcc, 0, v7
	v_mov_b32_e32 v8, 1
	s_and_saveexec_b64 s[4:5], vcc
	s_cbranch_execz .LBB31_280
; %bb.259:
	v_mov_b32_e32 v8, 0
	v_mov_b32_e32 v11, 1
	;; [unrolled: 1-line block ×3, first 2 shown]
	s_mov_b64 s[8:9], 0xbc8f
	v_mov_b32_e32 v12, 0
	s_mov_b64 s[6:7], 0
	s_brev_b32 s17, -2
	v_mov_b32_e32 v9, v7
	s_branch .LBB31_261
.LBB31_260:                             ;   in Loop: Header=BB31_261 Depth=1
	s_or_b64 exec, exec, s[14:15]
	s_mul_i32 s9, s8, s9
	s_mul_hi_u32 s14, s8, s8
	s_add_i32 s14, s14, s9
	s_add_i32 s14, s14, s9
	s_mul_i32 s15, s8, s8
	s_mul_i32 s9, s14, 3
	s_mul_hi_u32 s18, s15, 3
	s_mul_hi_u32 s8, s14, 3
	s_add_u32 s9, s9, s18
	s_addc_u32 s8, s8, 0
	s_mul_i32 s19, s15, 0x80000001
	s_mul_hi_u32 s18, s15, 0x80000001
	s_add_u32 s9, s19, s9
	s_addc_u32 s9, s18, 0
	s_add_u32 s8, s8, s9
	s_addc_u32 s9, 0, 0
	s_mul_i32 s19, s14, 0x80000001
	s_mul_hi_u32 s18, s14, 0x80000001
	s_add_u32 s8, s19, s8
	s_addc_u32 s9, s18, s9
	s_lshr_b32 s18, s9, 30
	s_lshr_b64 s[8:9], s[8:9], 30
	s_mul_i32 s18, s18, 0x7fffffff
	s_mul_hi_u32 s9, s8, 0x7fffffff
	v_lshrrev_b64 v[21:22], 1, v[9:10]
	s_add_i32 s9, s9, s18
	s_mul_i32 s8, s8, 0x7fffffff
	s_sub_u32 s8, s15, s8
	v_cmp_gt_u64_e32 vcc, 2, v[9:10]
	s_subb_u32 s9, s14, s9
	v_mov_b32_e32 v9, v21
	s_or_b64 s[6:7], vcc, s[6:7]
	v_mov_b32_e32 v10, v22
	s_andn2_b64 exec, exec, s[6:7]
	s_cbranch_execz .LBB31_279
.LBB31_261:                             ; =>This Inner Loop Header: Depth=1
	v_and_b32_e32 v7, 1, v9
	v_cmp_eq_u32_e32 vcc, 1, v7
	s_and_saveexec_b64 s[14:15], vcc
	s_cbranch_execz .LBB31_260
; %bb.262:                              ;   in Loop: Header=BB31_261 Depth=1
	v_mad_u64_u32 v[21:22], s[18:19], s8, v11, 0
	v_mul_lo_u32 v11, s9, v11
	v_mul_lo_u32 v12, s8, v12
	v_mul_hi_u32 v7, v21, 5
	v_add3_u32 v24, v22, v12, v11
	v_mad_u64_u32 v[11:12], s[18:19], v24, 5, v[7:8]
	v_mov_b32_e32 v7, v11
	v_mad_u64_u32 v[22:23], s[18:19], v21, 2, v[7:8]
	v_add_co_u32_e32 v11, vcc, v12, v23
	v_addc_co_u32_e64 v12, s[18:19], 0, 0, vcc
	v_mad_u64_u32 v[11:12], s[18:19], v24, 2, v[11:12]
	v_sub_co_u32_e32 v22, vcc, v21, v11
	v_subb_co_u32_e32 v23, vcc, v24, v12, vcc
	v_lshrrev_b64 v[22:23], 1, v[22:23]
	v_add_co_u32_e32 v7, vcc, v22, v11
	v_addc_co_u32_e32 v22, vcc, v23, v12, vcc
	v_alignbit_b32 v7, v22, v7, 30
	v_mad_u64_u32 v[11:12], s[18:19], v7, s17, 0
	v_lshrrev_b32_e32 v22, 30, v22
	v_mov_b32_e32 v7, v12
	v_mad_u64_u32 v[22:23], s[18:19], v22, s17, v[7:8]
	v_sub_co_u32_e32 v11, vcc, v21, v11
	v_subb_co_u32_e32 v12, vcc, v24, v22, vcc
	s_branch .LBB31_260
.LBB31_263:
	s_or_b64 exec, exec, s[6:7]
	v_add_u32_e32 v7, 0x80000001, v11
	v_min_u32_e32 v7, v7, v11
	v_add_u32_e32 v8, 0x80000001, v7
	v_min_u32_e32 v8, v8, v7
.LBB31_264:
	s_or_b64 exec, exec, s[4:5]
	v_mov_b32_e32 v20, 0
	s_movk_i32 s6, 0x1388
	s_mov_b32 s7, 0xbc8f1391
	s_mov_b32 s8, 0xbc8f
	s_brev_b32 s9, 12
	s_mov_b32 s14, 0xf800000
	v_mov_b32_e32 v7, 0x260
.LBB31_265:                             ; =>This Inner Loop Header: Depth=1
	v_mul_hi_u32 v9, v8, s7
	v_add_f32_e32 v10, 1.0, v20
	s_add_i32 s6, s6, -2
	s_cmp_lg_u32 s6, 0
	v_lshrrev_b32_e32 v9, 15, v9
	v_mul_u32_u24_e32 v11, 0xadc8, v9
	v_sub_u32_e32 v8, v8, v11
	v_mul_lo_u32 v8, v8, s8
	v_mul_u32_u24_e32 v9, 0xd47, v9
	v_xor_b32_e32 v11, 0x7fffffff, v9
	v_sub_u32_e32 v12, 0, v9
	v_cmp_lt_u32_e32 vcc, v8, v9
	v_cndmask_b32_e32 v9, v12, v11, vcc
	v_add_u32_e32 v8, v9, v8
	v_mul_hi_u32 v11, v8, s7
	v_add_u32_e32 v9, -1, v8
	v_cvt_f32_u32_e32 v9, v9
	v_lshrrev_b32_e32 v11, 15, v11
	v_mul_u32_u24_e32 v12, 0xadc8, v11
	v_sub_u32_e32 v8, v8, v12
	v_mul_lo_u32 v8, v8, s8
	v_mul_u32_u24_e32 v11, 0xd47, v11
	v_xor_b32_e32 v12, 0x7fffffff, v11
	v_sub_u32_e32 v21, 0, v11
	v_cmp_lt_u32_e32 vcc, v8, v11
	v_cndmask_b32_e32 v11, v21, v12, vcc
	v_add_u32_e32 v8, v11, v8
	v_mul_hi_u32 v12, v8, s7
	v_add_u32_e32 v11, -1, v8
	v_cvt_f32_u32_e32 v11, v11
	v_fma_f32 v9, v9, s9, 0
	v_lshrrev_b32_e32 v12, 15, v12
	v_mul_u32_u24_e32 v21, 0xadc8, v12
	v_fma_f32 v11, v11, s9, 0
	v_sub_u32_e32 v8, v8, v21
	v_mul_f32_e32 v11, v11, v11
	v_mul_lo_u32 v8, v8, s8
	v_fmac_f32_e32 v11, v9, v9
	v_mul_f32_e32 v9, 0x4f800000, v11
	v_cmp_gt_f32_e32 vcc, s14, v11
	v_mul_u32_u24_e32 v12, 0xd47, v12
	v_cndmask_b32_e32 v9, v11, v9, vcc
	v_xor_b32_e32 v21, 0x7fffffff, v12
	v_sub_u32_e32 v22, 0, v12
	v_sqrt_f32_e32 v11, v9
	v_cmp_lt_u32_e64 s[4:5], v8, v12
	v_cndmask_b32_e64 v12, v22, v21, s[4:5]
	v_add_u32_e32 v8, v12, v8
	v_mul_hi_u32 v21, v8, s7
	v_add_u32_e32 v22, -1, v11
	v_add_u32_e32 v23, 1, v11
	v_fma_f32 v24, -v22, v11, v9
	v_fma_f32 v25, -v23, v11, v9
	v_cmp_ge_f32_e64 s[4:5], 0, v24
	v_cndmask_b32_e64 v11, v11, v22, s[4:5]
	v_cmp_lt_f32_e64 s[4:5], 0, v25
	v_lshrrev_b32_e32 v21, 15, v21
	v_cndmask_b32_e64 v11, v11, v23, s[4:5]
	v_mul_u32_u24_e32 v23, 0xadc8, v21
	v_add_u32_e32 v12, -1, v8
	v_sub_u32_e32 v8, v8, v23
	v_mul_f32_e32 v22, 0x37800000, v11
	v_mul_lo_u32 v8, v8, s8
	v_cndmask_b32_e32 v11, v11, v22, vcc
	v_cmp_class_f32_e32 vcc, v9, v7
	v_cndmask_b32_e32 v9, v11, v9, vcc
	v_mul_u32_u24_e32 v21, 0xd47, v21
	v_cmp_nge_f32_e32 vcc, 1.0, v9
	v_xor_b32_e32 v22, 0x7fffffff, v21
	v_sub_u32_e32 v23, 0, v21
	v_cndmask_b32_e32 v9, v10, v20, vcc
	v_cmp_lt_u32_e32 vcc, v8, v21
	v_cndmask_b32_e32 v11, v23, v22, vcc
	v_add_u32_e32 v8, v11, v8
	v_add_u32_e32 v11, -1, v8
	v_cvt_f32_u32_e32 v11, v11
	v_cvt_f32_u32_e32 v12, v12
	v_add_f32_e32 v10, 1.0, v9
	v_fma_f32 v11, v11, s9, 0
	v_fma_f32 v12, v12, s9, 0
	v_mul_f32_e32 v11, v11, v11
	v_fmac_f32_e32 v11, v12, v12
	v_mul_f32_e32 v12, 0x4f800000, v11
	v_cmp_gt_f32_e32 vcc, s14, v11
	v_cndmask_b32_e32 v11, v11, v12, vcc
	v_sqrt_f32_e32 v12, v11
	v_add_u32_e32 v20, -1, v12
	v_add_u32_e32 v21, 1, v12
	v_fma_f32 v22, -v20, v12, v11
	v_fma_f32 v23, -v21, v12, v11
	v_cmp_ge_f32_e64 s[4:5], 0, v22
	v_cndmask_b32_e64 v12, v12, v20, s[4:5]
	v_cmp_lt_f32_e64 s[4:5], 0, v23
	v_cndmask_b32_e64 v12, v12, v21, s[4:5]
	v_mul_f32_e32 v20, 0x37800000, v12
	v_cndmask_b32_e32 v12, v12, v20, vcc
	v_cmp_class_f32_e32 vcc, v11, v7
	v_cndmask_b32_e32 v11, v12, v11, vcc
	v_cmp_nge_f32_e32 vcc, 1.0, v11
	v_cndmask_b32_e32 v20, v10, v9, vcc
	s_cbranch_scc1 .LBB31_265
; %bb.266:
	v_add_u32_e32 v7, 0x753000, v6
	v_cmp_ne_u32_e32 vcc, 0, v7
	v_mov_b32_e32 v8, 1
	s_and_saveexec_b64 s[4:5], vcc
	s_cbranch_execz .LBB31_288
; %bb.267:
	v_mov_b32_e32 v8, 0
	v_mov_b32_e32 v11, 1
	;; [unrolled: 1-line block ×3, first 2 shown]
	s_mov_b64 s[8:9], 0xbc8f
	v_mov_b32_e32 v12, 0
	s_mov_b64 s[6:7], 0
	s_brev_b32 s17, -2
	v_mov_b32_e32 v9, v7
	s_branch .LBB31_269
.LBB31_268:                             ;   in Loop: Header=BB31_269 Depth=1
	s_or_b64 exec, exec, s[14:15]
	s_mul_i32 s9, s8, s9
	s_mul_hi_u32 s14, s8, s8
	s_add_i32 s14, s14, s9
	s_add_i32 s14, s14, s9
	s_mul_i32 s15, s8, s8
	s_mul_i32 s9, s14, 3
	s_mul_hi_u32 s18, s15, 3
	s_mul_hi_u32 s8, s14, 3
	s_add_u32 s9, s9, s18
	s_addc_u32 s8, s8, 0
	s_mul_i32 s19, s15, 0x80000001
	s_mul_hi_u32 s18, s15, 0x80000001
	s_add_u32 s9, s19, s9
	s_addc_u32 s9, s18, 0
	s_add_u32 s8, s8, s9
	s_addc_u32 s9, 0, 0
	s_mul_i32 s19, s14, 0x80000001
	s_mul_hi_u32 s18, s14, 0x80000001
	s_add_u32 s8, s19, s8
	s_addc_u32 s9, s18, s9
	s_lshr_b32 s18, s9, 30
	s_lshr_b64 s[8:9], s[8:9], 30
	s_mul_i32 s18, s18, 0x7fffffff
	s_mul_hi_u32 s9, s8, 0x7fffffff
	v_lshrrev_b64 v[21:22], 1, v[9:10]
	s_add_i32 s9, s9, s18
	s_mul_i32 s8, s8, 0x7fffffff
	s_sub_u32 s8, s15, s8
	v_cmp_gt_u64_e32 vcc, 2, v[9:10]
	s_subb_u32 s9, s14, s9
	v_mov_b32_e32 v9, v21
	s_or_b64 s[6:7], vcc, s[6:7]
	v_mov_b32_e32 v10, v22
	s_andn2_b64 exec, exec, s[6:7]
	s_cbranch_execz .LBB31_287
.LBB31_269:                             ; =>This Inner Loop Header: Depth=1
	v_and_b32_e32 v7, 1, v9
	v_cmp_eq_u32_e32 vcc, 1, v7
	s_and_saveexec_b64 s[14:15], vcc
	s_cbranch_execz .LBB31_268
; %bb.270:                              ;   in Loop: Header=BB31_269 Depth=1
	v_mad_u64_u32 v[21:22], s[18:19], s8, v11, 0
	v_mul_lo_u32 v11, s9, v11
	v_mul_lo_u32 v12, s8, v12
	v_mul_hi_u32 v7, v21, 5
	v_add3_u32 v24, v22, v12, v11
	v_mad_u64_u32 v[11:12], s[18:19], v24, 5, v[7:8]
	v_mov_b32_e32 v7, v11
	v_mad_u64_u32 v[22:23], s[18:19], v21, 2, v[7:8]
	v_add_co_u32_e32 v11, vcc, v12, v23
	v_addc_co_u32_e64 v12, s[18:19], 0, 0, vcc
	v_mad_u64_u32 v[11:12], s[18:19], v24, 2, v[11:12]
	v_sub_co_u32_e32 v22, vcc, v21, v11
	v_subb_co_u32_e32 v23, vcc, v24, v12, vcc
	v_lshrrev_b64 v[22:23], 1, v[22:23]
	v_add_co_u32_e32 v7, vcc, v22, v11
	v_addc_co_u32_e32 v22, vcc, v23, v12, vcc
	v_alignbit_b32 v7, v22, v7, 30
	v_mad_u64_u32 v[11:12], s[18:19], v7, s17, 0
	v_lshrrev_b32_e32 v22, 30, v22
	v_mov_b32_e32 v7, v12
	v_mad_u64_u32 v[22:23], s[18:19], v22, s17, v[7:8]
	v_sub_co_u32_e32 v11, vcc, v21, v11
	v_subb_co_u32_e32 v12, vcc, v24, v22, vcc
	s_branch .LBB31_268
.LBB31_271:
	s_or_b64 exec, exec, s[6:7]
	v_add_u32_e32 v5, 0x80000001, v9
	v_min_u32_e32 v5, v5, v9
	v_add_u32_e32 v6, 0x80000001, v5
	v_min_u32_e32 v6, v6, v5
.LBB31_272:
	s_or_b64 exec, exec, s[4:5]
	v_mov_b32_e32 v18, 0
	s_movk_i32 s6, 0x1388
	s_mov_b32 s7, 0xbc8f1391
	s_mov_b32 s8, 0xbc8f
	s_brev_b32 s9, 12
	s_mov_b32 s14, 0xf800000
	v_mov_b32_e32 v5, 0x260
.LBB31_273:                             ; =>This Inner Loop Header: Depth=1
	v_mul_hi_u32 v7, v6, s7
	v_add_f32_e32 v8, 1.0, v18
	s_add_i32 s6, s6, -2
	s_cmp_lg_u32 s6, 0
	v_lshrrev_b32_e32 v7, 15, v7
	v_mul_u32_u24_e32 v9, 0xadc8, v7
	v_sub_u32_e32 v6, v6, v9
	v_mul_lo_u32 v6, v6, s8
	v_mul_u32_u24_e32 v7, 0xd47, v7
	v_xor_b32_e32 v9, 0x7fffffff, v7
	v_sub_u32_e32 v10, 0, v7
	v_cmp_lt_u32_e32 vcc, v6, v7
	v_cndmask_b32_e32 v7, v10, v9, vcc
	v_add_u32_e32 v6, v7, v6
	v_mul_hi_u32 v9, v6, s7
	v_add_u32_e32 v7, -1, v6
	v_cvt_f32_u32_e32 v7, v7
	v_lshrrev_b32_e32 v9, 15, v9
	v_mul_u32_u24_e32 v10, 0xadc8, v9
	v_sub_u32_e32 v6, v6, v10
	v_mul_lo_u32 v6, v6, s8
	v_mul_u32_u24_e32 v9, 0xd47, v9
	v_xor_b32_e32 v10, 0x7fffffff, v9
	v_sub_u32_e32 v19, 0, v9
	v_cmp_lt_u32_e32 vcc, v6, v9
	v_cndmask_b32_e32 v9, v19, v10, vcc
	v_add_u32_e32 v6, v9, v6
	v_mul_hi_u32 v10, v6, s7
	v_add_u32_e32 v9, -1, v6
	v_cvt_f32_u32_e32 v9, v9
	v_fma_f32 v7, v7, s9, 0
	v_lshrrev_b32_e32 v10, 15, v10
	v_mul_u32_u24_e32 v19, 0xadc8, v10
	v_fma_f32 v9, v9, s9, 0
	v_sub_u32_e32 v6, v6, v19
	v_mul_f32_e32 v9, v9, v9
	v_mul_lo_u32 v6, v6, s8
	v_fmac_f32_e32 v9, v7, v7
	v_mul_f32_e32 v7, 0x4f800000, v9
	v_cmp_gt_f32_e32 vcc, s14, v9
	v_mul_u32_u24_e32 v10, 0xd47, v10
	v_cndmask_b32_e32 v7, v9, v7, vcc
	v_xor_b32_e32 v19, 0x7fffffff, v10
	v_sub_u32_e32 v20, 0, v10
	v_sqrt_f32_e32 v9, v7
	v_cmp_lt_u32_e64 s[4:5], v6, v10
	v_cndmask_b32_e64 v10, v20, v19, s[4:5]
	v_add_u32_e32 v6, v10, v6
	v_mul_hi_u32 v19, v6, s7
	v_add_u32_e32 v20, -1, v9
	v_add_u32_e32 v21, 1, v9
	v_fma_f32 v22, -v20, v9, v7
	v_fma_f32 v23, -v21, v9, v7
	v_cmp_ge_f32_e64 s[4:5], 0, v22
	v_cndmask_b32_e64 v9, v9, v20, s[4:5]
	v_cmp_lt_f32_e64 s[4:5], 0, v23
	v_lshrrev_b32_e32 v19, 15, v19
	v_cndmask_b32_e64 v9, v9, v21, s[4:5]
	v_mul_u32_u24_e32 v21, 0xadc8, v19
	v_add_u32_e32 v10, -1, v6
	v_sub_u32_e32 v6, v6, v21
	v_mul_f32_e32 v20, 0x37800000, v9
	v_mul_lo_u32 v6, v6, s8
	v_cndmask_b32_e32 v9, v9, v20, vcc
	v_cmp_class_f32_e32 vcc, v7, v5
	v_cndmask_b32_e32 v7, v9, v7, vcc
	v_mul_u32_u24_e32 v19, 0xd47, v19
	v_cmp_nge_f32_e32 vcc, 1.0, v7
	v_xor_b32_e32 v20, 0x7fffffff, v19
	v_sub_u32_e32 v21, 0, v19
	v_cndmask_b32_e32 v7, v8, v18, vcc
	v_cmp_lt_u32_e32 vcc, v6, v19
	v_cndmask_b32_e32 v9, v21, v20, vcc
	v_add_u32_e32 v6, v9, v6
	v_add_u32_e32 v9, -1, v6
	v_cvt_f32_u32_e32 v9, v9
	v_cvt_f32_u32_e32 v10, v10
	v_add_f32_e32 v8, 1.0, v7
	v_fma_f32 v9, v9, s9, 0
	v_fma_f32 v10, v10, s9, 0
	v_mul_f32_e32 v9, v9, v9
	v_fmac_f32_e32 v9, v10, v10
	v_mul_f32_e32 v10, 0x4f800000, v9
	v_cmp_gt_f32_e32 vcc, s14, v9
	v_cndmask_b32_e32 v9, v9, v10, vcc
	v_sqrt_f32_e32 v10, v9
	v_add_u32_e32 v18, -1, v10
	v_add_u32_e32 v19, 1, v10
	v_fma_f32 v20, -v18, v10, v9
	v_fma_f32 v21, -v19, v10, v9
	v_cmp_ge_f32_e64 s[4:5], 0, v20
	v_cndmask_b32_e64 v10, v10, v18, s[4:5]
	v_cmp_lt_f32_e64 s[4:5], 0, v21
	v_cndmask_b32_e64 v10, v10, v19, s[4:5]
	v_mul_f32_e32 v18, 0x37800000, v10
	v_cndmask_b32_e32 v10, v10, v18, vcc
	v_cmp_class_f32_e32 vcc, v9, v5
	v_cndmask_b32_e32 v9, v10, v9, vcc
	v_cmp_nge_f32_e32 vcc, 1.0, v9
	v_cndmask_b32_e32 v18, v8, v7, vcc
	s_cbranch_scc1 .LBB31_273
; %bb.274:
	v_add_u32_e32 v5, 0x753000, v4
	v_cmp_ne_u32_e32 vcc, 0, v5
	v_mov_b32_e32 v6, 1
	s_and_saveexec_b64 s[4:5], vcc
	s_cbranch_execz .LBB31_296
; %bb.275:
	v_mov_b32_e32 v6, 0
	v_mov_b32_e32 v9, 1
	;; [unrolled: 1-line block ×3, first 2 shown]
	s_mov_b64 s[8:9], 0xbc8f
	v_mov_b32_e32 v10, 0
	s_mov_b64 s[6:7], 0
	s_brev_b32 s17, -2
	v_mov_b32_e32 v7, v5
	s_branch .LBB31_277
.LBB31_276:                             ;   in Loop: Header=BB31_277 Depth=1
	s_or_b64 exec, exec, s[14:15]
	s_mul_i32 s9, s8, s9
	s_mul_hi_u32 s14, s8, s8
	s_add_i32 s14, s14, s9
	s_add_i32 s14, s14, s9
	s_mul_i32 s15, s8, s8
	s_mul_i32 s9, s14, 3
	s_mul_hi_u32 s18, s15, 3
	s_mul_hi_u32 s8, s14, 3
	s_add_u32 s9, s9, s18
	s_addc_u32 s8, s8, 0
	s_mul_i32 s19, s15, 0x80000001
	s_mul_hi_u32 s18, s15, 0x80000001
	s_add_u32 s9, s19, s9
	s_addc_u32 s9, s18, 0
	s_add_u32 s8, s8, s9
	s_addc_u32 s9, 0, 0
	s_mul_i32 s19, s14, 0x80000001
	s_mul_hi_u32 s18, s14, 0x80000001
	s_add_u32 s8, s19, s8
	s_addc_u32 s9, s18, s9
	s_lshr_b32 s18, s9, 30
	s_lshr_b64 s[8:9], s[8:9], 30
	s_mul_i32 s18, s18, 0x7fffffff
	s_mul_hi_u32 s9, s8, 0x7fffffff
	v_lshrrev_b64 v[19:20], 1, v[7:8]
	s_add_i32 s9, s9, s18
	s_mul_i32 s8, s8, 0x7fffffff
	s_sub_u32 s8, s15, s8
	v_cmp_gt_u64_e32 vcc, 2, v[7:8]
	s_subb_u32 s9, s14, s9
	v_mov_b32_e32 v7, v19
	s_or_b64 s[6:7], vcc, s[6:7]
	v_mov_b32_e32 v8, v20
	s_andn2_b64 exec, exec, s[6:7]
	s_cbranch_execz .LBB31_295
.LBB31_277:                             ; =>This Inner Loop Header: Depth=1
	v_and_b32_e32 v5, 1, v7
	v_cmp_eq_u32_e32 vcc, 1, v5
	s_and_saveexec_b64 s[14:15], vcc
	s_cbranch_execz .LBB31_276
; %bb.278:                              ;   in Loop: Header=BB31_277 Depth=1
	v_mad_u64_u32 v[19:20], s[18:19], s8, v9, 0
	v_mul_lo_u32 v9, s9, v9
	v_mul_lo_u32 v10, s8, v10
	v_mul_hi_u32 v5, v19, 5
	v_add3_u32 v22, v20, v10, v9
	v_mad_u64_u32 v[9:10], s[18:19], v22, 5, v[5:6]
	v_mov_b32_e32 v5, v9
	v_mad_u64_u32 v[20:21], s[18:19], v19, 2, v[5:6]
	v_add_co_u32_e32 v9, vcc, v10, v21
	v_addc_co_u32_e64 v10, s[18:19], 0, 0, vcc
	v_mad_u64_u32 v[9:10], s[18:19], v22, 2, v[9:10]
	v_sub_co_u32_e32 v20, vcc, v19, v9
	v_subb_co_u32_e32 v21, vcc, v22, v10, vcc
	v_lshrrev_b64 v[20:21], 1, v[20:21]
	v_add_co_u32_e32 v5, vcc, v20, v9
	v_addc_co_u32_e32 v20, vcc, v21, v10, vcc
	v_alignbit_b32 v5, v20, v5, 30
	v_mad_u64_u32 v[9:10], s[18:19], v5, s17, 0
	v_lshrrev_b32_e32 v20, 30, v20
	v_mov_b32_e32 v5, v10
	v_mad_u64_u32 v[20:21], s[18:19], v20, s17, v[5:6]
	v_sub_co_u32_e32 v9, vcc, v19, v9
	v_subb_co_u32_e32 v10, vcc, v22, v20, vcc
	s_branch .LBB31_276
.LBB31_279:
	s_or_b64 exec, exec, s[6:7]
	v_add_u32_e32 v7, 0x80000001, v11
	v_min_u32_e32 v7, v7, v11
	v_add_u32_e32 v8, 0x80000001, v7
	v_min_u32_e32 v8, v8, v7
.LBB31_280:
	s_or_b64 exec, exec, s[4:5]
	v_mov_b32_e32 v12, 0
	s_movk_i32 s6, 0x1388
	s_mov_b32 s7, 0xbc8f1391
	s_mov_b32 s8, 0xbc8f
	s_brev_b32 s9, 12
	s_mov_b32 s14, 0xf800000
	v_mov_b32_e32 v7, 0x260
.LBB31_281:                             ; =>This Inner Loop Header: Depth=1
	v_mul_hi_u32 v9, v8, s7
	v_add_f32_e32 v10, 1.0, v12
	s_add_i32 s6, s6, -2
	s_cmp_lg_u32 s6, 0
	v_lshrrev_b32_e32 v9, 15, v9
	v_mul_u32_u24_e32 v11, 0xadc8, v9
	v_sub_u32_e32 v8, v8, v11
	v_mul_lo_u32 v8, v8, s8
	v_mul_u32_u24_e32 v9, 0xd47, v9
	v_xor_b32_e32 v11, 0x7fffffff, v9
	v_sub_u32_e32 v21, 0, v9
	v_cmp_lt_u32_e32 vcc, v8, v9
	v_cndmask_b32_e32 v9, v21, v11, vcc
	v_add_u32_e32 v8, v9, v8
	v_mul_hi_u32 v11, v8, s7
	v_add_u32_e32 v9, -1, v8
	v_cvt_f32_u32_e32 v9, v9
	v_lshrrev_b32_e32 v11, 15, v11
	v_mul_u32_u24_e32 v21, 0xadc8, v11
	v_sub_u32_e32 v8, v8, v21
	v_mul_lo_u32 v8, v8, s8
	v_mul_u32_u24_e32 v11, 0xd47, v11
	v_xor_b32_e32 v21, 0x7fffffff, v11
	v_sub_u32_e32 v22, 0, v11
	v_cmp_lt_u32_e32 vcc, v8, v11
	v_cndmask_b32_e32 v11, v22, v21, vcc
	v_add_u32_e32 v8, v11, v8
	v_mul_hi_u32 v21, v8, s7
	v_add_u32_e32 v11, -1, v8
	v_cvt_f32_u32_e32 v11, v11
	v_fma_f32 v9, v9, s9, 0
	v_lshrrev_b32_e32 v21, 15, v21
	v_mul_u32_u24_e32 v22, 0xadc8, v21
	v_fma_f32 v11, v11, s9, 0
	v_sub_u32_e32 v8, v8, v22
	v_mul_f32_e32 v11, v11, v11
	v_mul_lo_u32 v8, v8, s8
	v_fmac_f32_e32 v11, v9, v9
	v_mul_f32_e32 v9, 0x4f800000, v11
	v_cmp_gt_f32_e32 vcc, s14, v11
	v_mul_u32_u24_e32 v21, 0xd47, v21
	v_cndmask_b32_e32 v9, v11, v9, vcc
	v_xor_b32_e32 v22, 0x7fffffff, v21
	v_sub_u32_e32 v23, 0, v21
	v_sqrt_f32_e32 v11, v9
	v_cmp_lt_u32_e64 s[4:5], v8, v21
	v_cndmask_b32_e64 v21, v23, v22, s[4:5]
	v_add_u32_e32 v8, v21, v8
	v_mul_hi_u32 v22, v8, s7
	v_add_u32_e32 v23, -1, v11
	v_add_u32_e32 v24, 1, v11
	v_fma_f32 v25, -v23, v11, v9
	v_fma_f32 v26, -v24, v11, v9
	v_cmp_ge_f32_e64 s[4:5], 0, v25
	v_cndmask_b32_e64 v11, v11, v23, s[4:5]
	v_cmp_lt_f32_e64 s[4:5], 0, v26
	v_lshrrev_b32_e32 v22, 15, v22
	v_cndmask_b32_e64 v11, v11, v24, s[4:5]
	v_mul_u32_u24_e32 v24, 0xadc8, v22
	v_add_u32_e32 v21, -1, v8
	v_sub_u32_e32 v8, v8, v24
	v_mul_f32_e32 v23, 0x37800000, v11
	v_mul_lo_u32 v8, v8, s8
	v_cndmask_b32_e32 v11, v11, v23, vcc
	v_cmp_class_f32_e32 vcc, v9, v7
	v_cndmask_b32_e32 v9, v11, v9, vcc
	v_mul_u32_u24_e32 v22, 0xd47, v22
	v_cmp_nge_f32_e32 vcc, 1.0, v9
	v_xor_b32_e32 v23, 0x7fffffff, v22
	v_sub_u32_e32 v24, 0, v22
	v_cndmask_b32_e32 v9, v10, v12, vcc
	v_cmp_lt_u32_e32 vcc, v8, v22
	v_cndmask_b32_e32 v11, v24, v23, vcc
	v_add_u32_e32 v8, v11, v8
	v_add_u32_e32 v11, -1, v8
	v_cvt_f32_u32_e32 v11, v11
	v_cvt_f32_u32_e32 v21, v21
	v_add_f32_e32 v10, 1.0, v9
	v_fma_f32 v11, v11, s9, 0
	v_fma_f32 v21, v21, s9, 0
	v_mul_f32_e32 v11, v11, v11
	v_fmac_f32_e32 v11, v21, v21
	v_mul_f32_e32 v12, 0x4f800000, v11
	v_cmp_gt_f32_e32 vcc, s14, v11
	v_cndmask_b32_e32 v11, v11, v12, vcc
	v_sqrt_f32_e32 v12, v11
	v_add_u32_e32 v21, -1, v12
	v_add_u32_e32 v22, 1, v12
	v_fma_f32 v23, -v21, v12, v11
	v_fma_f32 v24, -v22, v12, v11
	v_cmp_ge_f32_e64 s[4:5], 0, v23
	v_cndmask_b32_e64 v12, v12, v21, s[4:5]
	v_cmp_lt_f32_e64 s[4:5], 0, v24
	v_cndmask_b32_e64 v12, v12, v22, s[4:5]
	v_mul_f32_e32 v21, 0x37800000, v12
	v_cndmask_b32_e32 v12, v12, v21, vcc
	v_cmp_class_f32_e32 vcc, v11, v7
	v_cndmask_b32_e32 v11, v12, v11, vcc
	v_cmp_nge_f32_e32 vcc, 1.0, v11
	v_cndmask_b32_e32 v12, v10, v9, vcc
	s_cbranch_scc1 .LBB31_281
; %bb.282:
	v_add_u32_e32 v6, 0x88b800, v6
	v_cmp_ne_u32_e32 vcc, 0, v6
	v_mov_b32_e32 v8, 1
	s_and_saveexec_b64 s[4:5], vcc
	s_cbranch_execz .LBB31_304
; %bb.283:
	v_mov_b32_e32 v7, 0
	v_mov_b32_e32 v10, 1
	;; [unrolled: 1-line block ×3, first 2 shown]
	s_mov_b64 s[8:9], 0xbc8f
	v_mov_b32_e32 v11, 0
	s_mov_b64 s[6:7], 0
	s_brev_b32 s17, -2
	v_mov_b32_e32 v8, v6
	s_branch .LBB31_285
.LBB31_284:                             ;   in Loop: Header=BB31_285 Depth=1
	s_or_b64 exec, exec, s[14:15]
	s_mul_i32 s9, s8, s9
	s_mul_hi_u32 s14, s8, s8
	s_add_i32 s14, s14, s9
	s_add_i32 s14, s14, s9
	s_mul_i32 s15, s8, s8
	s_mul_i32 s9, s14, 3
	s_mul_hi_u32 s18, s15, 3
	s_mul_hi_u32 s8, s14, 3
	s_add_u32 s9, s9, s18
	s_addc_u32 s8, s8, 0
	s_mul_i32 s19, s15, 0x80000001
	s_mul_hi_u32 s18, s15, 0x80000001
	s_add_u32 s9, s19, s9
	s_addc_u32 s9, s18, 0
	s_add_u32 s8, s8, s9
	s_addc_u32 s9, 0, 0
	s_mul_i32 s19, s14, 0x80000001
	s_mul_hi_u32 s18, s14, 0x80000001
	s_add_u32 s8, s19, s8
	s_addc_u32 s9, s18, s9
	s_lshr_b32 s18, s9, 30
	s_lshr_b64 s[8:9], s[8:9], 30
	s_mul_i32 s18, s18, 0x7fffffff
	s_mul_hi_u32 s9, s8, 0x7fffffff
	v_lshrrev_b64 v[21:22], 1, v[8:9]
	s_add_i32 s9, s9, s18
	s_mul_i32 s8, s8, 0x7fffffff
	s_sub_u32 s8, s15, s8
	v_cmp_gt_u64_e32 vcc, 2, v[8:9]
	s_subb_u32 s9, s14, s9
	v_mov_b32_e32 v8, v21
	s_or_b64 s[6:7], vcc, s[6:7]
	v_mov_b32_e32 v9, v22
	s_andn2_b64 exec, exec, s[6:7]
	s_cbranch_execz .LBB31_303
.LBB31_285:                             ; =>This Inner Loop Header: Depth=1
	v_and_b32_e32 v6, 1, v8
	v_cmp_eq_u32_e32 vcc, 1, v6
	s_and_saveexec_b64 s[14:15], vcc
	s_cbranch_execz .LBB31_284
; %bb.286:                              ;   in Loop: Header=BB31_285 Depth=1
	v_mad_u64_u32 v[21:22], s[18:19], s8, v10, 0
	v_mul_lo_u32 v10, s9, v10
	v_mul_lo_u32 v11, s8, v11
	v_mul_hi_u32 v6, v21, 5
	v_add3_u32 v24, v22, v11, v10
	v_mad_u64_u32 v[10:11], s[18:19], v24, 5, v[6:7]
	v_mov_b32_e32 v6, v10
	v_mad_u64_u32 v[22:23], s[18:19], v21, 2, v[6:7]
	v_add_co_u32_e32 v10, vcc, v11, v23
	v_addc_co_u32_e64 v11, s[18:19], 0, 0, vcc
	v_mad_u64_u32 v[10:11], s[18:19], v24, 2, v[10:11]
	v_sub_co_u32_e32 v22, vcc, v21, v10
	v_subb_co_u32_e32 v23, vcc, v24, v11, vcc
	v_lshrrev_b64 v[22:23], 1, v[22:23]
	v_add_co_u32_e32 v6, vcc, v22, v10
	v_addc_co_u32_e32 v22, vcc, v23, v11, vcc
	v_alignbit_b32 v6, v22, v6, 30
	v_mad_u64_u32 v[10:11], s[18:19], v6, s17, 0
	v_lshrrev_b32_e32 v22, 30, v22
	v_mov_b32_e32 v6, v11
	v_mad_u64_u32 v[22:23], s[18:19], v22, s17, v[6:7]
	v_sub_co_u32_e32 v10, vcc, v21, v10
	v_subb_co_u32_e32 v11, vcc, v24, v22, vcc
	s_branch .LBB31_284
.LBB31_287:
	s_or_b64 exec, exec, s[6:7]
	v_add_u32_e32 v7, 0x80000001, v11
	v_min_u32_e32 v7, v7, v11
	v_add_u32_e32 v8, 0x80000001, v7
	v_min_u32_e32 v8, v8, v7
.LBB31_288:
	s_or_b64 exec, exec, s[4:5]
	v_mov_b32_e32 v21, 0
	s_movk_i32 s6, 0x1388
	s_mov_b32 s7, 0xbc8f1391
	s_mov_b32 s8, 0xbc8f
	s_brev_b32 s9, 12
	s_mov_b32 s14, 0xf800000
	v_mov_b32_e32 v7, 0x260
.LBB31_289:                             ; =>This Inner Loop Header: Depth=1
	v_mul_hi_u32 v9, v8, s7
	v_add_f32_e32 v10, 1.0, v21
	s_add_i32 s6, s6, -2
	s_cmp_lg_u32 s6, 0
	v_lshrrev_b32_e32 v9, 15, v9
	v_mul_u32_u24_e32 v11, 0xadc8, v9
	v_sub_u32_e32 v8, v8, v11
	v_mul_lo_u32 v8, v8, s8
	v_mul_u32_u24_e32 v9, 0xd47, v9
	v_xor_b32_e32 v11, 0x7fffffff, v9
	v_sub_u32_e32 v12, 0, v9
	v_cmp_lt_u32_e32 vcc, v8, v9
	v_cndmask_b32_e32 v9, v12, v11, vcc
	v_add_u32_e32 v8, v9, v8
	v_mul_hi_u32 v11, v8, s7
	v_add_u32_e32 v9, -1, v8
	v_cvt_f32_u32_e32 v9, v9
	v_lshrrev_b32_e32 v11, 15, v11
	v_mul_u32_u24_e32 v12, 0xadc8, v11
	v_sub_u32_e32 v8, v8, v12
	v_mul_lo_u32 v8, v8, s8
	v_mul_u32_u24_e32 v11, 0xd47, v11
	v_xor_b32_e32 v12, 0x7fffffff, v11
	v_sub_u32_e32 v22, 0, v11
	v_cmp_lt_u32_e32 vcc, v8, v11
	v_cndmask_b32_e32 v11, v22, v12, vcc
	v_add_u32_e32 v8, v11, v8
	v_mul_hi_u32 v12, v8, s7
	v_add_u32_e32 v11, -1, v8
	v_cvt_f32_u32_e32 v11, v11
	v_fma_f32 v9, v9, s9, 0
	v_lshrrev_b32_e32 v12, 15, v12
	v_mul_u32_u24_e32 v22, 0xadc8, v12
	v_fma_f32 v11, v11, s9, 0
	v_sub_u32_e32 v8, v8, v22
	v_mul_f32_e32 v11, v11, v11
	v_mul_lo_u32 v8, v8, s8
	v_fmac_f32_e32 v11, v9, v9
	v_mul_f32_e32 v9, 0x4f800000, v11
	v_cmp_gt_f32_e32 vcc, s14, v11
	v_mul_u32_u24_e32 v12, 0xd47, v12
	v_cndmask_b32_e32 v9, v11, v9, vcc
	v_xor_b32_e32 v22, 0x7fffffff, v12
	v_sub_u32_e32 v23, 0, v12
	v_sqrt_f32_e32 v11, v9
	v_cmp_lt_u32_e64 s[4:5], v8, v12
	v_cndmask_b32_e64 v12, v23, v22, s[4:5]
	v_add_u32_e32 v8, v12, v8
	v_mul_hi_u32 v22, v8, s7
	v_add_u32_e32 v23, -1, v11
	v_add_u32_e32 v24, 1, v11
	v_fma_f32 v25, -v23, v11, v9
	v_fma_f32 v26, -v24, v11, v9
	v_cmp_ge_f32_e64 s[4:5], 0, v25
	v_cndmask_b32_e64 v11, v11, v23, s[4:5]
	v_cmp_lt_f32_e64 s[4:5], 0, v26
	v_lshrrev_b32_e32 v22, 15, v22
	v_cndmask_b32_e64 v11, v11, v24, s[4:5]
	v_mul_u32_u24_e32 v24, 0xadc8, v22
	v_add_u32_e32 v12, -1, v8
	v_sub_u32_e32 v8, v8, v24
	v_mul_f32_e32 v23, 0x37800000, v11
	v_mul_lo_u32 v8, v8, s8
	v_cndmask_b32_e32 v11, v11, v23, vcc
	v_cmp_class_f32_e32 vcc, v9, v7
	v_cndmask_b32_e32 v9, v11, v9, vcc
	v_mul_u32_u24_e32 v22, 0xd47, v22
	v_cmp_nge_f32_e32 vcc, 1.0, v9
	v_xor_b32_e32 v23, 0x7fffffff, v22
	v_sub_u32_e32 v24, 0, v22
	v_cndmask_b32_e32 v9, v10, v21, vcc
	v_cmp_lt_u32_e32 vcc, v8, v22
	v_cndmask_b32_e32 v11, v24, v23, vcc
	v_add_u32_e32 v8, v11, v8
	v_add_u32_e32 v11, -1, v8
	v_cvt_f32_u32_e32 v11, v11
	v_cvt_f32_u32_e32 v12, v12
	v_add_f32_e32 v10, 1.0, v9
	v_fma_f32 v11, v11, s9, 0
	v_fma_f32 v12, v12, s9, 0
	v_mul_f32_e32 v11, v11, v11
	v_fmac_f32_e32 v11, v12, v12
	v_mul_f32_e32 v12, 0x4f800000, v11
	v_cmp_gt_f32_e32 vcc, s14, v11
	v_cndmask_b32_e32 v11, v11, v12, vcc
	v_sqrt_f32_e32 v12, v11
	v_add_u32_e32 v21, -1, v12
	v_add_u32_e32 v22, 1, v12
	v_fma_f32 v23, -v21, v12, v11
	v_fma_f32 v24, -v22, v12, v11
	v_cmp_ge_f32_e64 s[4:5], 0, v23
	v_cndmask_b32_e64 v12, v12, v21, s[4:5]
	v_cmp_lt_f32_e64 s[4:5], 0, v24
	v_cndmask_b32_e64 v12, v12, v22, s[4:5]
	v_mul_f32_e32 v21, 0x37800000, v12
	v_cndmask_b32_e32 v12, v12, v21, vcc
	v_cmp_class_f32_e32 vcc, v11, v7
	v_cndmask_b32_e32 v11, v12, v11, vcc
	v_cmp_nge_f32_e32 vcc, 1.0, v11
	v_cndmask_b32_e32 v21, v10, v9, vcc
	s_cbranch_scc1 .LBB31_289
; %bb.290:
	v_add_u32_e32 v7, 0x88b800, v6
	v_cmp_ne_u32_e32 vcc, 0, v7
	v_mov_b32_e32 v8, 1
	s_and_saveexec_b64 s[4:5], vcc
	s_cbranch_execz .LBB31_318
; %bb.291:
	v_mov_b32_e32 v8, 0
	v_mov_b32_e32 v11, 1
	;; [unrolled: 1-line block ×3, first 2 shown]
	s_mov_b64 s[8:9], 0xbc8f
	v_mov_b32_e32 v12, 0
	s_mov_b64 s[6:7], 0
	s_brev_b32 s17, -2
	v_mov_b32_e32 v9, v7
	s_branch .LBB31_293
.LBB31_292:                             ;   in Loop: Header=BB31_293 Depth=1
	s_or_b64 exec, exec, s[14:15]
	s_mul_i32 s9, s8, s9
	s_mul_hi_u32 s14, s8, s8
	s_add_i32 s14, s14, s9
	s_add_i32 s14, s14, s9
	s_mul_i32 s15, s8, s8
	s_mul_i32 s9, s14, 3
	s_mul_hi_u32 s18, s15, 3
	s_mul_hi_u32 s8, s14, 3
	s_add_u32 s9, s9, s18
	s_addc_u32 s8, s8, 0
	s_mul_i32 s19, s15, 0x80000001
	s_mul_hi_u32 s18, s15, 0x80000001
	s_add_u32 s9, s19, s9
	s_addc_u32 s9, s18, 0
	s_add_u32 s8, s8, s9
	s_addc_u32 s9, 0, 0
	s_mul_i32 s19, s14, 0x80000001
	s_mul_hi_u32 s18, s14, 0x80000001
	s_add_u32 s8, s19, s8
	s_addc_u32 s9, s18, s9
	s_lshr_b32 s18, s9, 30
	s_lshr_b64 s[8:9], s[8:9], 30
	s_mul_i32 s18, s18, 0x7fffffff
	s_mul_hi_u32 s9, s8, 0x7fffffff
	v_lshrrev_b64 v[22:23], 1, v[9:10]
	s_add_i32 s9, s9, s18
	s_mul_i32 s8, s8, 0x7fffffff
	s_sub_u32 s8, s15, s8
	v_cmp_gt_u64_e32 vcc, 2, v[9:10]
	s_subb_u32 s9, s14, s9
	v_mov_b32_e32 v9, v22
	s_or_b64 s[6:7], vcc, s[6:7]
	v_mov_b32_e32 v10, v23
	s_andn2_b64 exec, exec, s[6:7]
	s_cbranch_execz .LBB31_317
.LBB31_293:                             ; =>This Inner Loop Header: Depth=1
	v_and_b32_e32 v7, 1, v9
	v_cmp_eq_u32_e32 vcc, 1, v7
	s_and_saveexec_b64 s[14:15], vcc
	s_cbranch_execz .LBB31_292
; %bb.294:                              ;   in Loop: Header=BB31_293 Depth=1
	v_mad_u64_u32 v[22:23], s[18:19], s8, v11, 0
	v_mul_lo_u32 v11, s9, v11
	v_mul_lo_u32 v12, s8, v12
	v_mul_hi_u32 v7, v22, 5
	v_add3_u32 v25, v23, v12, v11
	v_mad_u64_u32 v[11:12], s[18:19], v25, 5, v[7:8]
	v_mov_b32_e32 v7, v11
	v_mad_u64_u32 v[23:24], s[18:19], v22, 2, v[7:8]
	v_add_co_u32_e32 v11, vcc, v12, v24
	v_addc_co_u32_e64 v12, s[18:19], 0, 0, vcc
	v_mad_u64_u32 v[11:12], s[18:19], v25, 2, v[11:12]
	v_sub_co_u32_e32 v23, vcc, v22, v11
	v_subb_co_u32_e32 v24, vcc, v25, v12, vcc
	v_lshrrev_b64 v[23:24], 1, v[23:24]
	v_add_co_u32_e32 v7, vcc, v23, v11
	v_addc_co_u32_e32 v23, vcc, v24, v12, vcc
	v_alignbit_b32 v7, v23, v7, 30
	v_mad_u64_u32 v[11:12], s[18:19], v7, s17, 0
	v_lshrrev_b32_e32 v23, 30, v23
	v_mov_b32_e32 v7, v12
	v_mad_u64_u32 v[23:24], s[18:19], v23, s17, v[7:8]
	v_sub_co_u32_e32 v11, vcc, v22, v11
	v_subb_co_u32_e32 v12, vcc, v25, v23, vcc
	s_branch .LBB31_292
.LBB31_295:
	s_or_b64 exec, exec, s[6:7]
	v_add_u32_e32 v5, 0x80000001, v9
	v_min_u32_e32 v5, v5, v9
	v_add_u32_e32 v6, 0x80000001, v5
	v_min_u32_e32 v6, v6, v5
.LBB31_296:
	s_or_b64 exec, exec, s[4:5]
	v_mov_b32_e32 v19, 0
	s_movk_i32 s6, 0x1388
	s_mov_b32 s7, 0xbc8f1391
	s_mov_b32 s8, 0xbc8f
	s_brev_b32 s9, 12
	s_mov_b32 s14, 0xf800000
	v_mov_b32_e32 v5, 0x260
.LBB31_297:                             ; =>This Inner Loop Header: Depth=1
	v_mul_hi_u32 v7, v6, s7
	v_add_f32_e32 v8, 1.0, v19
	s_add_i32 s6, s6, -2
	s_cmp_lg_u32 s6, 0
	v_lshrrev_b32_e32 v7, 15, v7
	v_mul_u32_u24_e32 v9, 0xadc8, v7
	v_sub_u32_e32 v6, v6, v9
	v_mul_lo_u32 v6, v6, s8
	v_mul_u32_u24_e32 v7, 0xd47, v7
	v_xor_b32_e32 v9, 0x7fffffff, v7
	v_sub_u32_e32 v10, 0, v7
	v_cmp_lt_u32_e32 vcc, v6, v7
	v_cndmask_b32_e32 v7, v10, v9, vcc
	v_add_u32_e32 v6, v7, v6
	v_mul_hi_u32 v9, v6, s7
	v_add_u32_e32 v7, -1, v6
	v_cvt_f32_u32_e32 v7, v7
	v_lshrrev_b32_e32 v9, 15, v9
	v_mul_u32_u24_e32 v10, 0xadc8, v9
	v_sub_u32_e32 v6, v6, v10
	v_mul_lo_u32 v6, v6, s8
	v_mul_u32_u24_e32 v9, 0xd47, v9
	v_xor_b32_e32 v10, 0x7fffffff, v9
	v_sub_u32_e32 v20, 0, v9
	v_cmp_lt_u32_e32 vcc, v6, v9
	v_cndmask_b32_e32 v9, v20, v10, vcc
	v_add_u32_e32 v6, v9, v6
	v_mul_hi_u32 v10, v6, s7
	v_add_u32_e32 v9, -1, v6
	v_cvt_f32_u32_e32 v9, v9
	v_fma_f32 v7, v7, s9, 0
	v_lshrrev_b32_e32 v10, 15, v10
	v_mul_u32_u24_e32 v20, 0xadc8, v10
	v_fma_f32 v9, v9, s9, 0
	v_sub_u32_e32 v6, v6, v20
	v_mul_f32_e32 v9, v9, v9
	v_mul_lo_u32 v6, v6, s8
	v_fmac_f32_e32 v9, v7, v7
	v_mul_f32_e32 v7, 0x4f800000, v9
	v_cmp_gt_f32_e32 vcc, s14, v9
	v_mul_u32_u24_e32 v10, 0xd47, v10
	v_cndmask_b32_e32 v7, v9, v7, vcc
	v_xor_b32_e32 v20, 0x7fffffff, v10
	v_sub_u32_e32 v21, 0, v10
	v_sqrt_f32_e32 v9, v7
	v_cmp_lt_u32_e64 s[4:5], v6, v10
	v_cndmask_b32_e64 v10, v21, v20, s[4:5]
	v_add_u32_e32 v6, v10, v6
	v_mul_hi_u32 v20, v6, s7
	v_add_u32_e32 v21, -1, v9
	v_add_u32_e32 v22, 1, v9
	v_fma_f32 v23, -v21, v9, v7
	v_fma_f32 v24, -v22, v9, v7
	v_cmp_ge_f32_e64 s[4:5], 0, v23
	v_cndmask_b32_e64 v9, v9, v21, s[4:5]
	v_cmp_lt_f32_e64 s[4:5], 0, v24
	v_lshrrev_b32_e32 v20, 15, v20
	v_cndmask_b32_e64 v9, v9, v22, s[4:5]
	v_mul_u32_u24_e32 v22, 0xadc8, v20
	v_add_u32_e32 v10, -1, v6
	v_sub_u32_e32 v6, v6, v22
	v_mul_f32_e32 v21, 0x37800000, v9
	v_mul_lo_u32 v6, v6, s8
	v_cndmask_b32_e32 v9, v9, v21, vcc
	v_cmp_class_f32_e32 vcc, v7, v5
	v_cndmask_b32_e32 v7, v9, v7, vcc
	v_mul_u32_u24_e32 v20, 0xd47, v20
	v_cmp_nge_f32_e32 vcc, 1.0, v7
	v_xor_b32_e32 v21, 0x7fffffff, v20
	v_sub_u32_e32 v22, 0, v20
	v_cndmask_b32_e32 v7, v8, v19, vcc
	v_cmp_lt_u32_e32 vcc, v6, v20
	v_cndmask_b32_e32 v9, v22, v21, vcc
	v_add_u32_e32 v6, v9, v6
	v_add_u32_e32 v9, -1, v6
	v_cvt_f32_u32_e32 v9, v9
	v_cvt_f32_u32_e32 v10, v10
	v_add_f32_e32 v8, 1.0, v7
	v_fma_f32 v9, v9, s9, 0
	v_fma_f32 v10, v10, s9, 0
	v_mul_f32_e32 v9, v9, v9
	v_fmac_f32_e32 v9, v10, v10
	v_mul_f32_e32 v10, 0x4f800000, v9
	v_cmp_gt_f32_e32 vcc, s14, v9
	v_cndmask_b32_e32 v9, v9, v10, vcc
	v_sqrt_f32_e32 v10, v9
	v_add_u32_e32 v19, -1, v10
	v_add_u32_e32 v20, 1, v10
	v_fma_f32 v21, -v19, v10, v9
	v_fma_f32 v22, -v20, v10, v9
	v_cmp_ge_f32_e64 s[4:5], 0, v21
	v_cndmask_b32_e64 v10, v10, v19, s[4:5]
	v_cmp_lt_f32_e64 s[4:5], 0, v22
	v_cndmask_b32_e64 v10, v10, v20, s[4:5]
	v_mul_f32_e32 v19, 0x37800000, v10
	v_cndmask_b32_e32 v10, v10, v19, vcc
	v_cmp_class_f32_e32 vcc, v9, v5
	v_cndmask_b32_e32 v9, v10, v9, vcc
	v_cmp_nge_f32_e32 vcc, 1.0, v9
	v_cndmask_b32_e32 v19, v8, v7, vcc
	s_cbranch_scc1 .LBB31_297
; %bb.298:
	v_add_u32_e32 v5, 0x88b800, v4
	v_cmp_ne_u32_e32 vcc, 0, v5
	v_mov_b32_e32 v6, 1
	s_and_saveexec_b64 s[4:5], vcc
	s_cbranch_execz .LBB31_326
; %bb.299:
	v_mov_b32_e32 v6, 0
	v_mov_b32_e32 v9, 1
	;; [unrolled: 1-line block ×3, first 2 shown]
	s_mov_b64 s[8:9], 0xbc8f
	v_mov_b32_e32 v10, 0
	s_mov_b64 s[6:7], 0
	s_brev_b32 s17, -2
	v_mov_b32_e32 v7, v5
	s_branch .LBB31_301
.LBB31_300:                             ;   in Loop: Header=BB31_301 Depth=1
	s_or_b64 exec, exec, s[14:15]
	s_mul_i32 s9, s8, s9
	s_mul_hi_u32 s14, s8, s8
	s_add_i32 s14, s14, s9
	s_add_i32 s14, s14, s9
	s_mul_i32 s15, s8, s8
	s_mul_i32 s9, s14, 3
	s_mul_hi_u32 s18, s15, 3
	s_mul_hi_u32 s8, s14, 3
	s_add_u32 s9, s9, s18
	s_addc_u32 s8, s8, 0
	s_mul_i32 s19, s15, 0x80000001
	s_mul_hi_u32 s18, s15, 0x80000001
	s_add_u32 s9, s19, s9
	s_addc_u32 s9, s18, 0
	s_add_u32 s8, s8, s9
	s_addc_u32 s9, 0, 0
	s_mul_i32 s19, s14, 0x80000001
	s_mul_hi_u32 s18, s14, 0x80000001
	s_add_u32 s8, s19, s8
	s_addc_u32 s9, s18, s9
	s_lshr_b32 s18, s9, 30
	s_lshr_b64 s[8:9], s[8:9], 30
	s_mul_i32 s18, s18, 0x7fffffff
	s_mul_hi_u32 s9, s8, 0x7fffffff
	v_lshrrev_b64 v[20:21], 1, v[7:8]
	s_add_i32 s9, s9, s18
	s_mul_i32 s8, s8, 0x7fffffff
	s_sub_u32 s8, s15, s8
	v_cmp_gt_u64_e32 vcc, 2, v[7:8]
	s_subb_u32 s9, s14, s9
	v_mov_b32_e32 v7, v20
	s_or_b64 s[6:7], vcc, s[6:7]
	v_mov_b32_e32 v8, v21
	s_andn2_b64 exec, exec, s[6:7]
	s_cbranch_execz .LBB31_325
.LBB31_301:                             ; =>This Inner Loop Header: Depth=1
	v_and_b32_e32 v5, 1, v7
	v_cmp_eq_u32_e32 vcc, 1, v5
	s_and_saveexec_b64 s[14:15], vcc
	s_cbranch_execz .LBB31_300
; %bb.302:                              ;   in Loop: Header=BB31_301 Depth=1
	v_mad_u64_u32 v[20:21], s[18:19], s8, v9, 0
	v_mul_lo_u32 v9, s9, v9
	v_mul_lo_u32 v10, s8, v10
	v_mul_hi_u32 v5, v20, 5
	v_add3_u32 v23, v21, v10, v9
	v_mad_u64_u32 v[9:10], s[18:19], v23, 5, v[5:6]
	v_mov_b32_e32 v5, v9
	v_mad_u64_u32 v[21:22], s[18:19], v20, 2, v[5:6]
	v_add_co_u32_e32 v9, vcc, v10, v22
	v_addc_co_u32_e64 v10, s[18:19], 0, 0, vcc
	v_mad_u64_u32 v[9:10], s[18:19], v23, 2, v[9:10]
	v_sub_co_u32_e32 v21, vcc, v20, v9
	v_subb_co_u32_e32 v22, vcc, v23, v10, vcc
	v_lshrrev_b64 v[21:22], 1, v[21:22]
	v_add_co_u32_e32 v5, vcc, v21, v9
	v_addc_co_u32_e32 v21, vcc, v22, v10, vcc
	v_alignbit_b32 v5, v21, v5, 30
	v_mad_u64_u32 v[9:10], s[18:19], v5, s17, 0
	v_lshrrev_b32_e32 v21, 30, v21
	v_mov_b32_e32 v5, v10
	v_mad_u64_u32 v[21:22], s[18:19], v21, s17, v[5:6]
	v_sub_co_u32_e32 v9, vcc, v20, v9
	v_subb_co_u32_e32 v10, vcc, v23, v21, vcc
	s_branch .LBB31_300
.LBB31_303:
	s_or_b64 exec, exec, s[6:7]
	v_add_u32_e32 v6, 0x80000001, v10
	v_min_u32_e32 v6, v6, v10
	v_add_u32_e32 v7, 0x80000001, v6
	v_min_u32_e32 v8, v7, v6
.LBB31_304:
	s_or_b64 exec, exec, s[4:5]
	v_mov_b32_e32 v6, 0
	s_movk_i32 s6, 0x1388
	s_mov_b32 s7, 0xbc8f1391
	s_mov_b32 s8, 0xbc8f
	s_brev_b32 s9, 12
	s_mov_b32 s14, 0xf800000
	v_mov_b32_e32 v7, 0x260
.LBB31_305:                             ; =>This Inner Loop Header: Depth=1
	v_mul_hi_u32 v9, v8, s7
	v_add_f32_e32 v10, 1.0, v6
	s_add_i32 s6, s6, -2
	s_cmp_lg_u32 s6, 0
	v_lshrrev_b32_e32 v9, 15, v9
	v_mul_u32_u24_e32 v11, 0xadc8, v9
	v_sub_u32_e32 v8, v8, v11
	v_mul_lo_u32 v8, v8, s8
	v_mul_u32_u24_e32 v9, 0xd47, v9
	v_xor_b32_e32 v11, 0x7fffffff, v9
	v_sub_u32_e32 v21, 0, v9
	v_cmp_lt_u32_e32 vcc, v8, v9
	v_cndmask_b32_e32 v9, v21, v11, vcc
	v_add_u32_e32 v8, v9, v8
	v_mul_hi_u32 v11, v8, s7
	v_add_u32_e32 v9, -1, v8
	v_cvt_f32_u32_e32 v9, v9
	v_lshrrev_b32_e32 v11, 15, v11
	v_mul_u32_u24_e32 v21, 0xadc8, v11
	v_sub_u32_e32 v8, v8, v21
	v_mul_lo_u32 v8, v8, s8
	v_mul_u32_u24_e32 v11, 0xd47, v11
	v_xor_b32_e32 v21, 0x7fffffff, v11
	v_sub_u32_e32 v22, 0, v11
	v_cmp_lt_u32_e32 vcc, v8, v11
	v_cndmask_b32_e32 v11, v22, v21, vcc
	v_add_u32_e32 v8, v11, v8
	v_mul_hi_u32 v21, v8, s7
	v_add_u32_e32 v11, -1, v8
	v_cvt_f32_u32_e32 v11, v11
	v_fma_f32 v9, v9, s9, 0
	v_lshrrev_b32_e32 v21, 15, v21
	v_mul_u32_u24_e32 v22, 0xadc8, v21
	v_fma_f32 v11, v11, s9, 0
	v_sub_u32_e32 v8, v8, v22
	v_mul_f32_e32 v11, v11, v11
	v_mul_lo_u32 v8, v8, s8
	v_fmac_f32_e32 v11, v9, v9
	v_mul_f32_e32 v9, 0x4f800000, v11
	v_cmp_gt_f32_e32 vcc, s14, v11
	v_mul_u32_u24_e32 v21, 0xd47, v21
	v_cndmask_b32_e32 v9, v11, v9, vcc
	v_xor_b32_e32 v22, 0x7fffffff, v21
	v_sub_u32_e32 v23, 0, v21
	v_sqrt_f32_e32 v11, v9
	v_cmp_lt_u32_e64 s[4:5], v8, v21
	v_cndmask_b32_e64 v21, v23, v22, s[4:5]
	v_add_u32_e32 v8, v21, v8
	v_mul_hi_u32 v22, v8, s7
	v_add_u32_e32 v23, -1, v11
	v_add_u32_e32 v24, 1, v11
	v_fma_f32 v25, -v23, v11, v9
	v_fma_f32 v26, -v24, v11, v9
	v_cmp_ge_f32_e64 s[4:5], 0, v25
	v_cndmask_b32_e64 v11, v11, v23, s[4:5]
	v_cmp_lt_f32_e64 s[4:5], 0, v26
	v_lshrrev_b32_e32 v22, 15, v22
	v_cndmask_b32_e64 v11, v11, v24, s[4:5]
	v_mul_u32_u24_e32 v24, 0xadc8, v22
	v_add_u32_e32 v21, -1, v8
	v_sub_u32_e32 v8, v8, v24
	v_mul_f32_e32 v23, 0x37800000, v11
	v_mul_lo_u32 v8, v8, s8
	v_cndmask_b32_e32 v11, v11, v23, vcc
	v_cmp_class_f32_e32 vcc, v9, v7
	v_cndmask_b32_e32 v9, v11, v9, vcc
	v_mul_u32_u24_e32 v22, 0xd47, v22
	v_cmp_nge_f32_e32 vcc, 1.0, v9
	v_xor_b32_e32 v23, 0x7fffffff, v22
	v_sub_u32_e32 v24, 0, v22
	v_cndmask_b32_e32 v6, v10, v6, vcc
	v_cmp_lt_u32_e32 vcc, v8, v22
	v_cndmask_b32_e32 v10, v24, v23, vcc
	v_add_u32_e32 v8, v10, v8
	v_add_u32_e32 v10, -1, v8
	v_cvt_f32_u32_e32 v10, v10
	v_cvt_f32_u32_e32 v21, v21
	v_add_f32_e32 v9, 1.0, v6
	v_fma_f32 v10, v10, s9, 0
	v_fma_f32 v21, v21, s9, 0
	v_mul_f32_e32 v10, v10, v10
	v_fmac_f32_e32 v10, v21, v21
	v_mul_f32_e32 v11, 0x4f800000, v10
	v_cmp_gt_f32_e32 vcc, s14, v10
	v_cndmask_b32_e32 v10, v10, v11, vcc
	v_sqrt_f32_e32 v11, v10
	v_add_u32_e32 v21, -1, v11
	v_add_u32_e32 v22, 1, v11
	v_fma_f32 v23, -v21, v11, v10
	v_fma_f32 v24, -v22, v11, v10
	v_cmp_ge_f32_e64 s[4:5], 0, v23
	v_cndmask_b32_e64 v11, v11, v21, s[4:5]
	v_cmp_lt_f32_e64 s[4:5], 0, v24
	v_cndmask_b32_e64 v11, v11, v22, s[4:5]
	v_mul_f32_e32 v21, 0x37800000, v11
	v_cndmask_b32_e32 v11, v11, v21, vcc
	v_cmp_class_f32_e32 vcc, v10, v7
	v_cndmask_b32_e32 v10, v11, v10, vcc
	v_cmp_nge_f32_e32 vcc, 1.0, v10
	v_cndmask_b32_e32 v6, v9, v6, vcc
	s_cbranch_scc1 .LBB31_305
; %bb.306:
	v_mul_f32_e32 v7, 4.0, v12
	s_mov_b32 s14, 0x459c4000
	v_div_scale_f32 v8, s[4:5], s14, s14, v7
	v_mul_f32_e32 v9, 4.0, v20
	v_div_scale_f32 v10, s[4:5], s14, s14, v9
	v_div_scale_f32 v11, vcc, v7, s14, v7
	v_mul_f32_e32 v12, 4.0, v19
	v_div_scale_f32 v19, s[4:5], v9, s14, v9
	v_div_scale_f32 v20, s[6:7], s14, s14, v12
	;; [unrolled: 1-line block ×3, first 2 shown]
	v_mul_f32_e32 v18, 4.0, v18
	v_mul_f32_e32 v17, 4.0, v17
	v_rcp_f32_e32 v21, v8
	v_mul_f32_e32 v16, 4.0, v16
	v_mul_f32_e32 v15, 4.0, v15
	v_rcp_f32_e32 v22, v10
	v_fma_f32 v24, -v8, v21, 1.0
	v_fmac_f32_e32 v21, v24, v21
	v_mul_f32_e32 v24, v11, v21
	v_fma_f32 v25, -v10, v22, 1.0
	v_fmac_f32_e32 v22, v25, v22
	v_fma_f32 v25, -v8, v24, v11
	v_fmac_f32_e32 v24, v25, v21
	v_fma_f32 v8, -v8, v24, v11
	v_mul_f32_e32 v11, v19, v22
	v_div_fmas_f32 v8, v8, v21, v24
	v_fma_f32 v21, -v10, v11, v19
	v_fmac_f32_e32 v11, v21, v22
	v_div_scale_f32 v21, s[8:9], s14, s14, v18
	v_fma_f32 v10, -v10, v11, v19
	s_mov_b64 vcc, s[4:5]
	v_div_fmas_f32 v10, v10, v22, v11
	v_div_scale_f32 v22, s[4:5], v18, s14, v18
	v_rcp_f32_e32 v24, v20
	v_div_scale_f32 v25, s[8:9], s14, s14, v17
	s_mov_b64 vcc, s[6:7]
	v_fma_f32 v11, -v20, v24, 1.0
	v_fmac_f32_e32 v24, v11, v24
	v_mul_f32_e32 v11, v23, v24
	v_fma_f32 v19, -v20, v11, v23
	v_fmac_f32_e32 v11, v19, v24
	v_fma_f32 v19, -v20, v11, v23
	v_rcp_f32_e32 v20, v21
	v_div_scale_f32 v23, s[8:9], v17, s14, v17
	v_div_fmas_f32 v11, v19, v24, v11
	v_div_scale_f32 v24, s[6:7], s14, s14, v16
	v_fma_f32 v19, -v21, v20, 1.0
	v_fmac_f32_e32 v20, v19, v20
	v_mul_f32_e32 v19, v22, v20
	v_fma_f32 v26, -v21, v19, v22
	v_fmac_f32_e32 v19, v26, v20
	v_fma_f32 v21, -v21, v19, v22
	s_mov_b64 vcc, s[4:5]
	v_div_scale_f32 v22, s[4:5], v16, s14, v16
	v_rcp_f32_e32 v26, v25
	v_div_scale_f32 v27, s[6:7], s14, s14, v15
	v_div_fmas_f32 v19, v21, v20, v19
	v_fma_f32 v20, -v25, v26, 1.0
	v_fmac_f32_e32 v26, v20, v26
	v_mul_f32_e32 v20, v23, v26
	v_fma_f32 v21, -v25, v20, v23
	v_fmac_f32_e32 v20, v21, v26
	v_rcp_f32_e32 v21, v24
	v_fma_f32 v23, -v25, v20, v23
	v_div_scale_f32 v25, s[6:7], v15, s14, v15
	s_mov_b64 vcc, s[8:9]
	v_mul_f32_e32 v6, 4.0, v6
	v_div_fmas_f32 v20, v23, v26, v20
	v_div_scale_f32 v26, s[8:9], s14, s14, v6
	v_fma_f32 v23, -v24, v21, 1.0
	v_fmac_f32_e32 v21, v23, v21
	v_mul_f32_e32 v23, v22, v21
	v_fma_f32 v28, -v24, v23, v22
	v_fmac_f32_e32 v23, v28, v21
	v_div_scale_f32 v28, s[8:9], v6, s14, v6
	v_rcp_f32_e32 v29, v27
	v_fma_f32 v22, -v24, v23, v22
	s_mov_b64 vcc, s[4:5]
	v_div_fmas_f32 v21, v22, v21, v23
	v_fma_f32 v22, -v27, v29, 1.0
	v_fmac_f32_e32 v29, v22, v29
	v_mul_f32_e32 v22, v25, v29
	v_fma_f32 v23, -v27, v22, v25
	v_fmac_f32_e32 v22, v23, v29
	v_rcp_f32_e32 v23, v26
	v_fma_f32 v24, -v27, v22, v25
	s_mov_b64 vcc, s[6:7]
	v_div_fmas_f32 v22, v24, v29, v22
	v_fma_f32 v24, -v26, v23, 1.0
	v_fmac_f32_e32 v23, v24, v23
	v_mul_f32_e32 v24, v28, v23
	v_fma_f32 v25, -v26, v24, v28
	v_fmac_f32_e32 v24, v25, v23
	v_fma_f32 v25, -v26, v24, v28
	s_mov_b64 vcc, s[8:9]
	v_div_fmas_f32 v23, v25, v23, v24
	v_div_fixup_f32 v7, v8, s14, v7
	v_div_fixup_f32 v8, v10, s14, v9
	;; [unrolled: 1-line block ×7, first 2 shown]
	v_add_f32_e32 v12, v15, v12
	v_add_f32_e32 v11, v12, v11
	;; [unrolled: 1-line block ×6, first 2 shown]
	v_div_fixup_f32 v6, v23, s14, v6
	v_add_f32_e32 v7, v7, v6
	v_mbcnt_lo_u32_b32 v6, -1, 0
	v_mbcnt_hi_u32_b32 v6, -1, v6
	v_add_f32_dpp v7, v7, v7 quad_perm:[1,0,3,2] row_mask:0xf bank_mask:0xf bound_ctrl:1
	v_lshlrev_b32_e32 v8, 2, v6
	v_or_b32_e32 v9, 0xfc, v8
	v_add_f32_dpp v7, v7, v7 quad_perm:[2,3,0,1] row_mask:0xf bank_mask:0xf bound_ctrl:1
	v_cmp_eq_u32_e32 vcc, 0, v6
	s_nop 0
	v_add_f32_dpp v7, v7, v7 row_ror:4 row_mask:0xf bank_mask:0xf bound_ctrl:1
	s_nop 1
	v_add_f32_dpp v7, v7, v7 row_ror:8 row_mask:0xf bank_mask:0xf bound_ctrl:1
	s_nop 1
	v_add_f32_dpp v7, v7, v7 row_bcast:15 row_mask:0xf bank_mask:0xf bound_ctrl:1
	s_nop 1
	v_add_f32_dpp v7, v7, v7 row_bcast:31 row_mask:0xf bank_mask:0xf bound_ctrl:1
	ds_bpermute_b32 v7, v9, v7
	s_and_saveexec_b64 s[4:5], vcc
	s_cbranch_execz .LBB31_308
; %bb.307:
	v_lshrrev_b32_e32 v9, 4, v14
	v_and_b32_e32 v9, 60, v9
	s_waitcnt lgkmcnt(0)
	ds_write_b32 v9, v7 offset:80
.LBB31_308:
	s_or_b64 exec, exec, s[4:5]
	v_cmp_gt_u32_e32 vcc, 64, v14
	s_waitcnt lgkmcnt(0)
	s_barrier
	s_and_saveexec_b64 s[4:5], vcc
	s_cbranch_execz .LBB31_310
; %bb.309:
	v_and_b32_e32 v7, 3, v6
	v_lshlrev_b32_e32 v9, 2, v7
	ds_read_b32 v9, v9 offset:80
	v_cmp_ne_u32_e32 vcc, 3, v7
	v_addc_co_u32_e32 v6, vcc, 0, v6, vcc
	v_lshlrev_b32_e32 v6, 2, v6
	s_waitcnt lgkmcnt(0)
	ds_bpermute_b32 v6, v6, v9
	v_or_b32_e32 v7, 8, v8
	s_waitcnt lgkmcnt(0)
	v_add_f32_e32 v6, v9, v6
	ds_bpermute_b32 v7, v7, v6
	s_waitcnt lgkmcnt(0)
	v_add_f32_e32 v7, v6, v7
.LBB31_310:
	s_or_b64 exec, exec, s[4:5]
                                        ; implicit-def: $vgpr15
	s_andn2_saveexec_b64 s[24:25], s[10:11]
	s_cbranch_execz .LBB31_18
.LBB31_311:
	v_subrev_u32_e32 v12, s16, v2
	v_mov_b32_e32 v16, 0
	v_cmp_lt_u32_e32 vcc, v14, v12
	v_mov_b32_e32 v17, v16
	v_mov_b32_e32 v18, v16
	;; [unrolled: 1-line block ×7, first 2 shown]
	s_and_saveexec_b64 s[6:7], vcc
	s_cbranch_execz .LBB31_634
; %bb.312:
	v_add_u32_e32 v6, v15, v14
	s_movk_i32 s4, 0x1388
	v_mul_lo_u32 v6, v6, s4
	v_mov_b32_e32 v8, 1
	v_cmp_ne_u32_e32 vcc, 0, v6
	s_and_saveexec_b64 s[4:5], vcc
	s_cbranch_execz .LBB31_631
; %bb.313:
	v_mov_b32_e32 v7, 0
	v_mov_b32_e32 v10, 1
	;; [unrolled: 1-line block ×3, first 2 shown]
	s_mov_b64 s[10:11], 0xbc8f
	v_mov_b32_e32 v11, 0
	s_mov_b64 s[8:9], 0
	s_brev_b32 s16, -2
	v_mov_b32_e32 v8, v6
	s_branch .LBB31_315
.LBB31_314:                             ;   in Loop: Header=BB31_315 Depth=1
	s_or_b64 exec, exec, s[14:15]
	s_mul_i32 s11, s10, s11
	s_mul_hi_u32 s14, s10, s10
	s_add_i32 s14, s14, s11
	s_add_i32 s14, s14, s11
	s_mul_i32 s15, s10, s10
	s_mul_i32 s11, s14, 3
	s_mul_hi_u32 s17, s15, 3
	s_mul_hi_u32 s10, s14, 3
	s_add_u32 s11, s11, s17
	s_addc_u32 s10, s10, 0
	s_mul_i32 s18, s15, 0x80000001
	s_mul_hi_u32 s17, s15, 0x80000001
	s_add_u32 s11, s18, s11
	s_addc_u32 s11, s17, 0
	s_add_u32 s10, s10, s11
	s_addc_u32 s11, 0, 0
	s_mul_i32 s18, s14, 0x80000001
	s_mul_hi_u32 s17, s14, 0x80000001
	s_add_u32 s10, s18, s10
	s_addc_u32 s11, s17, s11
	s_lshr_b32 s17, s11, 30
	s_lshr_b64 s[10:11], s[10:11], 30
	s_mul_i32 s17, s17, 0x7fffffff
	s_mul_hi_u32 s11, s10, 0x7fffffff
	v_lshrrev_b64 v[16:17], 1, v[8:9]
	s_add_i32 s11, s11, s17
	s_mul_i32 s10, s10, 0x7fffffff
	s_sub_u32 s10, s15, s10
	v_cmp_gt_u64_e32 vcc, 2, v[8:9]
	s_subb_u32 s11, s14, s11
	v_mov_b32_e32 v8, v16
	s_or_b64 s[8:9], vcc, s[8:9]
	v_mov_b32_e32 v9, v17
	s_andn2_b64 exec, exec, s[8:9]
	s_cbranch_execz .LBB31_630
.LBB31_315:                             ; =>This Inner Loop Header: Depth=1
	v_and_b32_e32 v6, 1, v8
	v_cmp_eq_u32_e32 vcc, 1, v6
	s_and_saveexec_b64 s[14:15], vcc
	s_cbranch_execz .LBB31_314
; %bb.316:                              ;   in Loop: Header=BB31_315 Depth=1
	v_mad_u64_u32 v[16:17], s[18:19], s10, v10, 0
	v_mul_lo_u32 v10, s11, v10
	v_mul_lo_u32 v11, s10, v11
	v_mul_hi_u32 v6, v16, 5
	v_add3_u32 v19, v17, v11, v10
	v_mad_u64_u32 v[10:11], s[18:19], v19, 5, v[6:7]
	v_mov_b32_e32 v6, v10
	v_mad_u64_u32 v[17:18], s[18:19], v16, 2, v[6:7]
	v_add_co_u32_e32 v10, vcc, v11, v18
	v_addc_co_u32_e64 v11, s[18:19], 0, 0, vcc
	v_mad_u64_u32 v[10:11], s[18:19], v19, 2, v[10:11]
	v_sub_co_u32_e32 v17, vcc, v16, v10
	v_subb_co_u32_e32 v18, vcc, v19, v11, vcc
	v_lshrrev_b64 v[17:18], 1, v[17:18]
	v_add_co_u32_e32 v6, vcc, v17, v10
	v_addc_co_u32_e32 v17, vcc, v18, v11, vcc
	v_alignbit_b32 v6, v17, v6, 30
	v_mad_u64_u32 v[10:11], s[18:19], v6, s16, 0
	v_lshrrev_b32_e32 v17, 30, v17
	v_mov_b32_e32 v6, v11
	v_mad_u64_u32 v[17:18], s[18:19], v17, s16, v[6:7]
	v_sub_co_u32_e32 v10, vcc, v16, v10
	v_subb_co_u32_e32 v11, vcc, v19, v17, vcc
	s_branch .LBB31_314
.LBB31_317:
	s_or_b64 exec, exec, s[6:7]
	v_add_u32_e32 v7, 0x80000001, v11
	v_min_u32_e32 v7, v7, v11
	v_add_u32_e32 v8, 0x80000001, v7
	v_min_u32_e32 v8, v8, v7
.LBB31_318:
	s_or_b64 exec, exec, s[4:5]
	v_mov_b32_e32 v22, 0
	s_movk_i32 s6, 0x1388
	s_mov_b32 s7, 0xbc8f1391
	s_mov_b32 s8, 0xbc8f
	s_brev_b32 s9, 12
	s_mov_b32 s14, 0xf800000
	v_mov_b32_e32 v7, 0x260
.LBB31_319:                             ; =>This Inner Loop Header: Depth=1
	v_mul_hi_u32 v9, v8, s7
	v_add_f32_e32 v10, 1.0, v22
	s_add_i32 s6, s6, -2
	s_cmp_lg_u32 s6, 0
	v_lshrrev_b32_e32 v9, 15, v9
	v_mul_u32_u24_e32 v11, 0xadc8, v9
	v_sub_u32_e32 v8, v8, v11
	v_mul_lo_u32 v8, v8, s8
	v_mul_u32_u24_e32 v9, 0xd47, v9
	v_xor_b32_e32 v11, 0x7fffffff, v9
	v_sub_u32_e32 v12, 0, v9
	v_cmp_lt_u32_e32 vcc, v8, v9
	v_cndmask_b32_e32 v9, v12, v11, vcc
	v_add_u32_e32 v8, v9, v8
	v_mul_hi_u32 v11, v8, s7
	v_add_u32_e32 v9, -1, v8
	v_cvt_f32_u32_e32 v9, v9
	v_lshrrev_b32_e32 v11, 15, v11
	v_mul_u32_u24_e32 v12, 0xadc8, v11
	v_sub_u32_e32 v8, v8, v12
	v_mul_lo_u32 v8, v8, s8
	v_mul_u32_u24_e32 v11, 0xd47, v11
	v_xor_b32_e32 v12, 0x7fffffff, v11
	v_sub_u32_e32 v23, 0, v11
	v_cmp_lt_u32_e32 vcc, v8, v11
	v_cndmask_b32_e32 v11, v23, v12, vcc
	v_add_u32_e32 v8, v11, v8
	v_mul_hi_u32 v12, v8, s7
	v_add_u32_e32 v11, -1, v8
	v_cvt_f32_u32_e32 v11, v11
	v_fma_f32 v9, v9, s9, 0
	v_lshrrev_b32_e32 v12, 15, v12
	v_mul_u32_u24_e32 v23, 0xadc8, v12
	v_fma_f32 v11, v11, s9, 0
	v_sub_u32_e32 v8, v8, v23
	v_mul_f32_e32 v11, v11, v11
	v_mul_lo_u32 v8, v8, s8
	v_fmac_f32_e32 v11, v9, v9
	v_mul_f32_e32 v9, 0x4f800000, v11
	v_cmp_gt_f32_e32 vcc, s14, v11
	v_mul_u32_u24_e32 v12, 0xd47, v12
	v_cndmask_b32_e32 v9, v11, v9, vcc
	v_xor_b32_e32 v23, 0x7fffffff, v12
	v_sub_u32_e32 v24, 0, v12
	v_sqrt_f32_e32 v11, v9
	v_cmp_lt_u32_e64 s[4:5], v8, v12
	v_cndmask_b32_e64 v12, v24, v23, s[4:5]
	v_add_u32_e32 v8, v12, v8
	v_mul_hi_u32 v23, v8, s7
	v_add_u32_e32 v24, -1, v11
	v_add_u32_e32 v25, 1, v11
	v_fma_f32 v26, -v24, v11, v9
	v_fma_f32 v27, -v25, v11, v9
	v_cmp_ge_f32_e64 s[4:5], 0, v26
	v_cndmask_b32_e64 v11, v11, v24, s[4:5]
	v_cmp_lt_f32_e64 s[4:5], 0, v27
	v_lshrrev_b32_e32 v23, 15, v23
	v_cndmask_b32_e64 v11, v11, v25, s[4:5]
	v_mul_u32_u24_e32 v25, 0xadc8, v23
	v_add_u32_e32 v12, -1, v8
	v_sub_u32_e32 v8, v8, v25
	v_mul_f32_e32 v24, 0x37800000, v11
	v_mul_lo_u32 v8, v8, s8
	v_cndmask_b32_e32 v11, v11, v24, vcc
	v_cmp_class_f32_e32 vcc, v9, v7
	v_cndmask_b32_e32 v9, v11, v9, vcc
	v_mul_u32_u24_e32 v23, 0xd47, v23
	v_cmp_nge_f32_e32 vcc, 1.0, v9
	v_xor_b32_e32 v24, 0x7fffffff, v23
	v_sub_u32_e32 v25, 0, v23
	v_cndmask_b32_e32 v9, v10, v22, vcc
	v_cmp_lt_u32_e32 vcc, v8, v23
	v_cndmask_b32_e32 v11, v25, v24, vcc
	v_add_u32_e32 v8, v11, v8
	v_add_u32_e32 v11, -1, v8
	v_cvt_f32_u32_e32 v11, v11
	v_cvt_f32_u32_e32 v12, v12
	v_add_f32_e32 v10, 1.0, v9
	v_fma_f32 v11, v11, s9, 0
	v_fma_f32 v12, v12, s9, 0
	v_mul_f32_e32 v11, v11, v11
	v_fmac_f32_e32 v11, v12, v12
	v_mul_f32_e32 v12, 0x4f800000, v11
	v_cmp_gt_f32_e32 vcc, s14, v11
	v_cndmask_b32_e32 v11, v11, v12, vcc
	v_sqrt_f32_e32 v12, v11
	v_add_u32_e32 v22, -1, v12
	v_add_u32_e32 v23, 1, v12
	v_fma_f32 v24, -v22, v12, v11
	v_fma_f32 v25, -v23, v12, v11
	v_cmp_ge_f32_e64 s[4:5], 0, v24
	v_cndmask_b32_e64 v12, v12, v22, s[4:5]
	v_cmp_lt_f32_e64 s[4:5], 0, v25
	v_cndmask_b32_e64 v12, v12, v23, s[4:5]
	v_mul_f32_e32 v22, 0x37800000, v12
	v_cndmask_b32_e32 v12, v12, v22, vcc
	v_cmp_class_f32_e32 vcc, v11, v7
	v_cndmask_b32_e32 v11, v12, v11, vcc
	v_cmp_nge_f32_e32 vcc, 1.0, v11
	v_cndmask_b32_e32 v22, v10, v9, vcc
	s_cbranch_scc1 .LBB31_319
; %bb.320:
	v_add_u32_e32 v7, 0x9c4000, v6
	v_cmp_ne_u32_e32 vcc, 0, v7
	v_mov_b32_e32 v8, 1
	s_and_saveexec_b64 s[4:5], vcc
	s_cbranch_execz .LBB31_334
; %bb.321:
	v_mov_b32_e32 v8, 0
	v_mov_b32_e32 v11, 1
	;; [unrolled: 1-line block ×3, first 2 shown]
	s_mov_b64 s[8:9], 0xbc8f
	v_mov_b32_e32 v12, 0
	s_mov_b64 s[6:7], 0
	s_brev_b32 s17, -2
	v_mov_b32_e32 v9, v7
	s_branch .LBB31_323
.LBB31_322:                             ;   in Loop: Header=BB31_323 Depth=1
	s_or_b64 exec, exec, s[14:15]
	s_mul_i32 s9, s8, s9
	s_mul_hi_u32 s14, s8, s8
	s_add_i32 s14, s14, s9
	s_add_i32 s14, s14, s9
	s_mul_i32 s15, s8, s8
	s_mul_i32 s9, s14, 3
	s_mul_hi_u32 s18, s15, 3
	s_mul_hi_u32 s8, s14, 3
	s_add_u32 s9, s9, s18
	s_addc_u32 s8, s8, 0
	s_mul_i32 s19, s15, 0x80000001
	s_mul_hi_u32 s18, s15, 0x80000001
	s_add_u32 s9, s19, s9
	s_addc_u32 s9, s18, 0
	s_add_u32 s8, s8, s9
	s_addc_u32 s9, 0, 0
	s_mul_i32 s19, s14, 0x80000001
	s_mul_hi_u32 s18, s14, 0x80000001
	s_add_u32 s8, s19, s8
	s_addc_u32 s9, s18, s9
	s_lshr_b32 s18, s9, 30
	s_lshr_b64 s[8:9], s[8:9], 30
	s_mul_i32 s18, s18, 0x7fffffff
	s_mul_hi_u32 s9, s8, 0x7fffffff
	v_lshrrev_b64 v[23:24], 1, v[9:10]
	s_add_i32 s9, s9, s18
	s_mul_i32 s8, s8, 0x7fffffff
	s_sub_u32 s8, s15, s8
	v_cmp_gt_u64_e32 vcc, 2, v[9:10]
	s_subb_u32 s9, s14, s9
	v_mov_b32_e32 v9, v23
	s_or_b64 s[6:7], vcc, s[6:7]
	v_mov_b32_e32 v10, v24
	s_andn2_b64 exec, exec, s[6:7]
	s_cbranch_execz .LBB31_333
.LBB31_323:                             ; =>This Inner Loop Header: Depth=1
	v_and_b32_e32 v7, 1, v9
	v_cmp_eq_u32_e32 vcc, 1, v7
	s_and_saveexec_b64 s[14:15], vcc
	s_cbranch_execz .LBB31_322
; %bb.324:                              ;   in Loop: Header=BB31_323 Depth=1
	v_mad_u64_u32 v[23:24], s[18:19], s8, v11, 0
	v_mul_lo_u32 v11, s9, v11
	v_mul_lo_u32 v12, s8, v12
	v_mul_hi_u32 v7, v23, 5
	v_add3_u32 v26, v24, v12, v11
	v_mad_u64_u32 v[11:12], s[18:19], v26, 5, v[7:8]
	v_mov_b32_e32 v7, v11
	v_mad_u64_u32 v[24:25], s[18:19], v23, 2, v[7:8]
	v_add_co_u32_e32 v11, vcc, v12, v25
	v_addc_co_u32_e64 v12, s[18:19], 0, 0, vcc
	v_mad_u64_u32 v[11:12], s[18:19], v26, 2, v[11:12]
	v_sub_co_u32_e32 v24, vcc, v23, v11
	v_subb_co_u32_e32 v25, vcc, v26, v12, vcc
	v_lshrrev_b64 v[24:25], 1, v[24:25]
	v_add_co_u32_e32 v7, vcc, v24, v11
	v_addc_co_u32_e32 v24, vcc, v25, v12, vcc
	v_alignbit_b32 v7, v24, v7, 30
	v_mad_u64_u32 v[11:12], s[18:19], v7, s17, 0
	v_lshrrev_b32_e32 v24, 30, v24
	v_mov_b32_e32 v7, v12
	v_mad_u64_u32 v[24:25], s[18:19], v24, s17, v[7:8]
	v_sub_co_u32_e32 v11, vcc, v23, v11
	v_subb_co_u32_e32 v12, vcc, v26, v24, vcc
	s_branch .LBB31_322
.LBB31_325:
	s_or_b64 exec, exec, s[6:7]
	v_add_u32_e32 v5, 0x80000001, v9
	v_min_u32_e32 v5, v5, v9
	v_add_u32_e32 v6, 0x80000001, v5
	v_min_u32_e32 v6, v6, v5
.LBB31_326:
	s_or_b64 exec, exec, s[4:5]
	v_mov_b32_e32 v20, 0
	s_movk_i32 s6, 0x1388
	s_mov_b32 s7, 0xbc8f1391
	s_mov_b32 s8, 0xbc8f
	s_brev_b32 s9, 12
	s_mov_b32 s14, 0xf800000
	v_mov_b32_e32 v5, 0x260
.LBB31_327:                             ; =>This Inner Loop Header: Depth=1
	v_mul_hi_u32 v7, v6, s7
	v_add_f32_e32 v8, 1.0, v20
	s_add_i32 s6, s6, -2
	s_cmp_lg_u32 s6, 0
	v_lshrrev_b32_e32 v7, 15, v7
	v_mul_u32_u24_e32 v9, 0xadc8, v7
	v_sub_u32_e32 v6, v6, v9
	v_mul_lo_u32 v6, v6, s8
	v_mul_u32_u24_e32 v7, 0xd47, v7
	v_xor_b32_e32 v9, 0x7fffffff, v7
	v_sub_u32_e32 v10, 0, v7
	v_cmp_lt_u32_e32 vcc, v6, v7
	v_cndmask_b32_e32 v7, v10, v9, vcc
	v_add_u32_e32 v6, v7, v6
	v_mul_hi_u32 v9, v6, s7
	v_add_u32_e32 v7, -1, v6
	v_cvt_f32_u32_e32 v7, v7
	v_lshrrev_b32_e32 v9, 15, v9
	v_mul_u32_u24_e32 v10, 0xadc8, v9
	v_sub_u32_e32 v6, v6, v10
	v_mul_lo_u32 v6, v6, s8
	v_mul_u32_u24_e32 v9, 0xd47, v9
	v_xor_b32_e32 v10, 0x7fffffff, v9
	v_sub_u32_e32 v21, 0, v9
	v_cmp_lt_u32_e32 vcc, v6, v9
	v_cndmask_b32_e32 v9, v21, v10, vcc
	v_add_u32_e32 v6, v9, v6
	v_mul_hi_u32 v10, v6, s7
	v_add_u32_e32 v9, -1, v6
	v_cvt_f32_u32_e32 v9, v9
	v_fma_f32 v7, v7, s9, 0
	v_lshrrev_b32_e32 v10, 15, v10
	v_mul_u32_u24_e32 v21, 0xadc8, v10
	v_fma_f32 v9, v9, s9, 0
	v_sub_u32_e32 v6, v6, v21
	v_mul_f32_e32 v9, v9, v9
	v_mul_lo_u32 v6, v6, s8
	v_fmac_f32_e32 v9, v7, v7
	v_mul_f32_e32 v7, 0x4f800000, v9
	v_cmp_gt_f32_e32 vcc, s14, v9
	v_mul_u32_u24_e32 v10, 0xd47, v10
	v_cndmask_b32_e32 v7, v9, v7, vcc
	v_xor_b32_e32 v21, 0x7fffffff, v10
	v_sub_u32_e32 v22, 0, v10
	v_sqrt_f32_e32 v9, v7
	v_cmp_lt_u32_e64 s[4:5], v6, v10
	v_cndmask_b32_e64 v10, v22, v21, s[4:5]
	v_add_u32_e32 v6, v10, v6
	v_mul_hi_u32 v21, v6, s7
	v_add_u32_e32 v22, -1, v9
	v_add_u32_e32 v23, 1, v9
	v_fma_f32 v24, -v22, v9, v7
	v_fma_f32 v25, -v23, v9, v7
	v_cmp_ge_f32_e64 s[4:5], 0, v24
	v_cndmask_b32_e64 v9, v9, v22, s[4:5]
	v_cmp_lt_f32_e64 s[4:5], 0, v25
	v_lshrrev_b32_e32 v21, 15, v21
	v_cndmask_b32_e64 v9, v9, v23, s[4:5]
	v_mul_u32_u24_e32 v23, 0xadc8, v21
	v_add_u32_e32 v10, -1, v6
	v_sub_u32_e32 v6, v6, v23
	v_mul_f32_e32 v22, 0x37800000, v9
	v_mul_lo_u32 v6, v6, s8
	v_cndmask_b32_e32 v9, v9, v22, vcc
	v_cmp_class_f32_e32 vcc, v7, v5
	v_cndmask_b32_e32 v7, v9, v7, vcc
	v_mul_u32_u24_e32 v21, 0xd47, v21
	v_cmp_nge_f32_e32 vcc, 1.0, v7
	v_xor_b32_e32 v22, 0x7fffffff, v21
	v_sub_u32_e32 v23, 0, v21
	v_cndmask_b32_e32 v7, v8, v20, vcc
	v_cmp_lt_u32_e32 vcc, v6, v21
	v_cndmask_b32_e32 v9, v23, v22, vcc
	v_add_u32_e32 v6, v9, v6
	v_add_u32_e32 v9, -1, v6
	v_cvt_f32_u32_e32 v9, v9
	v_cvt_f32_u32_e32 v10, v10
	v_add_f32_e32 v8, 1.0, v7
	v_fma_f32 v9, v9, s9, 0
	v_fma_f32 v10, v10, s9, 0
	v_mul_f32_e32 v9, v9, v9
	v_fmac_f32_e32 v9, v10, v10
	v_mul_f32_e32 v10, 0x4f800000, v9
	v_cmp_gt_f32_e32 vcc, s14, v9
	v_cndmask_b32_e32 v9, v9, v10, vcc
	v_sqrt_f32_e32 v10, v9
	v_add_u32_e32 v20, -1, v10
	v_add_u32_e32 v21, 1, v10
	v_fma_f32 v22, -v20, v10, v9
	v_fma_f32 v23, -v21, v10, v9
	v_cmp_ge_f32_e64 s[4:5], 0, v22
	v_cndmask_b32_e64 v10, v10, v20, s[4:5]
	v_cmp_lt_f32_e64 s[4:5], 0, v23
	v_cndmask_b32_e64 v10, v10, v21, s[4:5]
	v_mul_f32_e32 v20, 0x37800000, v10
	v_cndmask_b32_e32 v10, v10, v20, vcc
	v_cmp_class_f32_e32 vcc, v9, v5
	v_cndmask_b32_e32 v9, v10, v9, vcc
	v_cmp_nge_f32_e32 vcc, 1.0, v9
	v_cndmask_b32_e32 v20, v8, v7, vcc
	s_cbranch_scc1 .LBB31_327
; %bb.328:
	v_add_u32_e32 v5, 0x9c4000, v4
	v_cmp_ne_u32_e32 vcc, 0, v5
	v_mov_b32_e32 v6, 1
	s_and_saveexec_b64 s[4:5], vcc
	s_cbranch_execz .LBB31_342
; %bb.329:
	v_mov_b32_e32 v6, 0
	v_mov_b32_e32 v9, 1
	;; [unrolled: 1-line block ×3, first 2 shown]
	s_mov_b64 s[8:9], 0xbc8f
	v_mov_b32_e32 v10, 0
	s_mov_b64 s[6:7], 0
	s_brev_b32 s17, -2
	v_mov_b32_e32 v7, v5
	s_branch .LBB31_331
.LBB31_330:                             ;   in Loop: Header=BB31_331 Depth=1
	s_or_b64 exec, exec, s[14:15]
	s_mul_i32 s9, s8, s9
	s_mul_hi_u32 s14, s8, s8
	s_add_i32 s14, s14, s9
	s_add_i32 s14, s14, s9
	s_mul_i32 s15, s8, s8
	s_mul_i32 s9, s14, 3
	s_mul_hi_u32 s18, s15, 3
	s_mul_hi_u32 s8, s14, 3
	s_add_u32 s9, s9, s18
	s_addc_u32 s8, s8, 0
	s_mul_i32 s19, s15, 0x80000001
	s_mul_hi_u32 s18, s15, 0x80000001
	s_add_u32 s9, s19, s9
	s_addc_u32 s9, s18, 0
	s_add_u32 s8, s8, s9
	s_addc_u32 s9, 0, 0
	s_mul_i32 s19, s14, 0x80000001
	s_mul_hi_u32 s18, s14, 0x80000001
	s_add_u32 s8, s19, s8
	s_addc_u32 s9, s18, s9
	s_lshr_b32 s18, s9, 30
	s_lshr_b64 s[8:9], s[8:9], 30
	s_mul_i32 s18, s18, 0x7fffffff
	s_mul_hi_u32 s9, s8, 0x7fffffff
	v_lshrrev_b64 v[21:22], 1, v[7:8]
	s_add_i32 s9, s9, s18
	s_mul_i32 s8, s8, 0x7fffffff
	s_sub_u32 s8, s15, s8
	v_cmp_gt_u64_e32 vcc, 2, v[7:8]
	s_subb_u32 s9, s14, s9
	v_mov_b32_e32 v7, v21
	s_or_b64 s[6:7], vcc, s[6:7]
	v_mov_b32_e32 v8, v22
	s_andn2_b64 exec, exec, s[6:7]
	s_cbranch_execz .LBB31_341
.LBB31_331:                             ; =>This Inner Loop Header: Depth=1
	v_and_b32_e32 v5, 1, v7
	v_cmp_eq_u32_e32 vcc, 1, v5
	s_and_saveexec_b64 s[14:15], vcc
	s_cbranch_execz .LBB31_330
; %bb.332:                              ;   in Loop: Header=BB31_331 Depth=1
	v_mad_u64_u32 v[21:22], s[18:19], s8, v9, 0
	v_mul_lo_u32 v9, s9, v9
	v_mul_lo_u32 v10, s8, v10
	v_mul_hi_u32 v5, v21, 5
	v_add3_u32 v24, v22, v10, v9
	v_mad_u64_u32 v[9:10], s[18:19], v24, 5, v[5:6]
	v_mov_b32_e32 v5, v9
	v_mad_u64_u32 v[22:23], s[18:19], v21, 2, v[5:6]
	v_add_co_u32_e32 v9, vcc, v10, v23
	v_addc_co_u32_e64 v10, s[18:19], 0, 0, vcc
	v_mad_u64_u32 v[9:10], s[18:19], v24, 2, v[9:10]
	v_sub_co_u32_e32 v22, vcc, v21, v9
	v_subb_co_u32_e32 v23, vcc, v24, v10, vcc
	v_lshrrev_b64 v[22:23], 1, v[22:23]
	v_add_co_u32_e32 v5, vcc, v22, v9
	v_addc_co_u32_e32 v22, vcc, v23, v10, vcc
	v_alignbit_b32 v5, v22, v5, 30
	v_mad_u64_u32 v[9:10], s[18:19], v5, s17, 0
	v_lshrrev_b32_e32 v22, 30, v22
	v_mov_b32_e32 v5, v10
	v_mad_u64_u32 v[22:23], s[18:19], v22, s17, v[5:6]
	v_sub_co_u32_e32 v9, vcc, v21, v9
	v_subb_co_u32_e32 v10, vcc, v24, v22, vcc
	s_branch .LBB31_330
.LBB31_333:
	s_or_b64 exec, exec, s[6:7]
	v_add_u32_e32 v7, 0x80000001, v11
	v_min_u32_e32 v7, v7, v11
	v_add_u32_e32 v8, 0x80000001, v7
	v_min_u32_e32 v8, v8, v7
.LBB31_334:
	s_or_b64 exec, exec, s[4:5]
	v_mov_b32_e32 v23, 0
	s_movk_i32 s6, 0x1388
	s_mov_b32 s7, 0xbc8f1391
	s_mov_b32 s8, 0xbc8f
	s_brev_b32 s9, 12
	s_mov_b32 s14, 0xf800000
	v_mov_b32_e32 v7, 0x260
.LBB31_335:                             ; =>This Inner Loop Header: Depth=1
	v_mul_hi_u32 v9, v8, s7
	v_add_f32_e32 v10, 1.0, v23
	s_add_i32 s6, s6, -2
	s_cmp_lg_u32 s6, 0
	v_lshrrev_b32_e32 v9, 15, v9
	v_mul_u32_u24_e32 v11, 0xadc8, v9
	v_sub_u32_e32 v8, v8, v11
	v_mul_lo_u32 v8, v8, s8
	v_mul_u32_u24_e32 v9, 0xd47, v9
	v_xor_b32_e32 v11, 0x7fffffff, v9
	v_sub_u32_e32 v12, 0, v9
	v_cmp_lt_u32_e32 vcc, v8, v9
	v_cndmask_b32_e32 v9, v12, v11, vcc
	v_add_u32_e32 v8, v9, v8
	v_mul_hi_u32 v11, v8, s7
	v_add_u32_e32 v9, -1, v8
	v_cvt_f32_u32_e32 v9, v9
	v_lshrrev_b32_e32 v11, 15, v11
	v_mul_u32_u24_e32 v12, 0xadc8, v11
	v_sub_u32_e32 v8, v8, v12
	v_mul_lo_u32 v8, v8, s8
	v_mul_u32_u24_e32 v11, 0xd47, v11
	v_xor_b32_e32 v12, 0x7fffffff, v11
	v_sub_u32_e32 v24, 0, v11
	v_cmp_lt_u32_e32 vcc, v8, v11
	v_cndmask_b32_e32 v11, v24, v12, vcc
	v_add_u32_e32 v8, v11, v8
	v_mul_hi_u32 v12, v8, s7
	v_add_u32_e32 v11, -1, v8
	v_cvt_f32_u32_e32 v11, v11
	v_fma_f32 v9, v9, s9, 0
	v_lshrrev_b32_e32 v12, 15, v12
	v_mul_u32_u24_e32 v24, 0xadc8, v12
	v_fma_f32 v11, v11, s9, 0
	v_sub_u32_e32 v8, v8, v24
	v_mul_f32_e32 v11, v11, v11
	v_mul_lo_u32 v8, v8, s8
	v_fmac_f32_e32 v11, v9, v9
	v_mul_f32_e32 v9, 0x4f800000, v11
	v_cmp_gt_f32_e32 vcc, s14, v11
	v_mul_u32_u24_e32 v12, 0xd47, v12
	v_cndmask_b32_e32 v9, v11, v9, vcc
	v_xor_b32_e32 v24, 0x7fffffff, v12
	v_sub_u32_e32 v25, 0, v12
	v_sqrt_f32_e32 v11, v9
	v_cmp_lt_u32_e64 s[4:5], v8, v12
	v_cndmask_b32_e64 v12, v25, v24, s[4:5]
	v_add_u32_e32 v8, v12, v8
	v_mul_hi_u32 v24, v8, s7
	v_add_u32_e32 v25, -1, v11
	v_add_u32_e32 v26, 1, v11
	v_fma_f32 v27, -v25, v11, v9
	v_fma_f32 v28, -v26, v11, v9
	v_cmp_ge_f32_e64 s[4:5], 0, v27
	v_cndmask_b32_e64 v11, v11, v25, s[4:5]
	v_cmp_lt_f32_e64 s[4:5], 0, v28
	v_lshrrev_b32_e32 v24, 15, v24
	v_cndmask_b32_e64 v11, v11, v26, s[4:5]
	v_mul_u32_u24_e32 v26, 0xadc8, v24
	v_add_u32_e32 v12, -1, v8
	v_sub_u32_e32 v8, v8, v26
	v_mul_f32_e32 v25, 0x37800000, v11
	v_mul_lo_u32 v8, v8, s8
	v_cndmask_b32_e32 v11, v11, v25, vcc
	v_cmp_class_f32_e32 vcc, v9, v7
	v_cndmask_b32_e32 v9, v11, v9, vcc
	v_mul_u32_u24_e32 v24, 0xd47, v24
	v_cmp_nge_f32_e32 vcc, 1.0, v9
	v_xor_b32_e32 v25, 0x7fffffff, v24
	v_sub_u32_e32 v26, 0, v24
	v_cndmask_b32_e32 v9, v10, v23, vcc
	v_cmp_lt_u32_e32 vcc, v8, v24
	v_cndmask_b32_e32 v11, v26, v25, vcc
	v_add_u32_e32 v8, v11, v8
	v_add_u32_e32 v11, -1, v8
	v_cvt_f32_u32_e32 v11, v11
	v_cvt_f32_u32_e32 v12, v12
	v_add_f32_e32 v10, 1.0, v9
	v_fma_f32 v11, v11, s9, 0
	v_fma_f32 v12, v12, s9, 0
	v_mul_f32_e32 v11, v11, v11
	v_fmac_f32_e32 v11, v12, v12
	v_mul_f32_e32 v12, 0x4f800000, v11
	v_cmp_gt_f32_e32 vcc, s14, v11
	v_cndmask_b32_e32 v11, v11, v12, vcc
	v_sqrt_f32_e32 v12, v11
	v_add_u32_e32 v23, -1, v12
	v_add_u32_e32 v24, 1, v12
	v_fma_f32 v25, -v23, v12, v11
	v_fma_f32 v26, -v24, v12, v11
	v_cmp_ge_f32_e64 s[4:5], 0, v25
	v_cndmask_b32_e64 v12, v12, v23, s[4:5]
	v_cmp_lt_f32_e64 s[4:5], 0, v26
	v_cndmask_b32_e64 v12, v12, v24, s[4:5]
	v_mul_f32_e32 v23, 0x37800000, v12
	v_cndmask_b32_e32 v12, v12, v23, vcc
	v_cmp_class_f32_e32 vcc, v11, v7
	v_cndmask_b32_e32 v11, v12, v11, vcc
	v_cmp_nge_f32_e32 vcc, 1.0, v11
	v_cndmask_b32_e32 v23, v10, v9, vcc
	s_cbranch_scc1 .LBB31_335
; %bb.336:
	v_add_u32_e32 v7, 0xafc800, v6
	v_cmp_ne_u32_e32 vcc, 0, v7
	v_mov_b32_e32 v8, 1
	s_and_saveexec_b64 s[4:5], vcc
	s_cbranch_execz .LBB31_350
; %bb.337:
	v_mov_b32_e32 v8, 0
	v_mov_b32_e32 v11, 1
	;; [unrolled: 1-line block ×3, first 2 shown]
	s_mov_b64 s[8:9], 0xbc8f
	v_mov_b32_e32 v12, 0
	s_mov_b64 s[6:7], 0
	s_brev_b32 s17, -2
	v_mov_b32_e32 v9, v7
	s_branch .LBB31_339
.LBB31_338:                             ;   in Loop: Header=BB31_339 Depth=1
	s_or_b64 exec, exec, s[14:15]
	s_mul_i32 s9, s8, s9
	s_mul_hi_u32 s14, s8, s8
	s_add_i32 s14, s14, s9
	s_add_i32 s14, s14, s9
	s_mul_i32 s15, s8, s8
	s_mul_i32 s9, s14, 3
	s_mul_hi_u32 s18, s15, 3
	s_mul_hi_u32 s8, s14, 3
	s_add_u32 s9, s9, s18
	s_addc_u32 s8, s8, 0
	s_mul_i32 s19, s15, 0x80000001
	s_mul_hi_u32 s18, s15, 0x80000001
	s_add_u32 s9, s19, s9
	s_addc_u32 s9, s18, 0
	s_add_u32 s8, s8, s9
	s_addc_u32 s9, 0, 0
	s_mul_i32 s19, s14, 0x80000001
	s_mul_hi_u32 s18, s14, 0x80000001
	s_add_u32 s8, s19, s8
	s_addc_u32 s9, s18, s9
	s_lshr_b32 s18, s9, 30
	s_lshr_b64 s[8:9], s[8:9], 30
	s_mul_i32 s18, s18, 0x7fffffff
	s_mul_hi_u32 s9, s8, 0x7fffffff
	v_lshrrev_b64 v[24:25], 1, v[9:10]
	s_add_i32 s9, s9, s18
	s_mul_i32 s8, s8, 0x7fffffff
	s_sub_u32 s8, s15, s8
	v_cmp_gt_u64_e32 vcc, 2, v[9:10]
	s_subb_u32 s9, s14, s9
	v_mov_b32_e32 v9, v24
	s_or_b64 s[6:7], vcc, s[6:7]
	v_mov_b32_e32 v10, v25
	s_andn2_b64 exec, exec, s[6:7]
	s_cbranch_execz .LBB31_349
.LBB31_339:                             ; =>This Inner Loop Header: Depth=1
	v_and_b32_e32 v7, 1, v9
	v_cmp_eq_u32_e32 vcc, 1, v7
	s_and_saveexec_b64 s[14:15], vcc
	s_cbranch_execz .LBB31_338
; %bb.340:                              ;   in Loop: Header=BB31_339 Depth=1
	v_mad_u64_u32 v[24:25], s[18:19], s8, v11, 0
	v_mul_lo_u32 v11, s9, v11
	v_mul_lo_u32 v12, s8, v12
	v_mul_hi_u32 v7, v24, 5
	v_add3_u32 v27, v25, v12, v11
	v_mad_u64_u32 v[11:12], s[18:19], v27, 5, v[7:8]
	v_mov_b32_e32 v7, v11
	v_mad_u64_u32 v[25:26], s[18:19], v24, 2, v[7:8]
	v_add_co_u32_e32 v11, vcc, v12, v26
	v_addc_co_u32_e64 v12, s[18:19], 0, 0, vcc
	v_mad_u64_u32 v[11:12], s[18:19], v27, 2, v[11:12]
	v_sub_co_u32_e32 v25, vcc, v24, v11
	v_subb_co_u32_e32 v26, vcc, v27, v12, vcc
	v_lshrrev_b64 v[25:26], 1, v[25:26]
	v_add_co_u32_e32 v7, vcc, v25, v11
	v_addc_co_u32_e32 v25, vcc, v26, v12, vcc
	v_alignbit_b32 v7, v25, v7, 30
	v_mad_u64_u32 v[11:12], s[18:19], v7, s17, 0
	v_lshrrev_b32_e32 v25, 30, v25
	v_mov_b32_e32 v7, v12
	v_mad_u64_u32 v[25:26], s[18:19], v25, s17, v[7:8]
	v_sub_co_u32_e32 v11, vcc, v24, v11
	v_subb_co_u32_e32 v12, vcc, v27, v25, vcc
	s_branch .LBB31_338
.LBB31_341:
	s_or_b64 exec, exec, s[6:7]
	v_add_u32_e32 v5, 0x80000001, v9
	v_min_u32_e32 v5, v5, v9
	v_add_u32_e32 v6, 0x80000001, v5
	v_min_u32_e32 v6, v6, v5
.LBB31_342:
	s_or_b64 exec, exec, s[4:5]
	v_mov_b32_e32 v21, 0
	s_movk_i32 s6, 0x1388
	s_mov_b32 s7, 0xbc8f1391
	s_mov_b32 s8, 0xbc8f
	s_brev_b32 s9, 12
	s_mov_b32 s14, 0xf800000
	v_mov_b32_e32 v5, 0x260
.LBB31_343:                             ; =>This Inner Loop Header: Depth=1
	v_mul_hi_u32 v7, v6, s7
	v_add_f32_e32 v8, 1.0, v21
	s_add_i32 s6, s6, -2
	s_cmp_lg_u32 s6, 0
	v_lshrrev_b32_e32 v7, 15, v7
	v_mul_u32_u24_e32 v9, 0xadc8, v7
	v_sub_u32_e32 v6, v6, v9
	v_mul_lo_u32 v6, v6, s8
	v_mul_u32_u24_e32 v7, 0xd47, v7
	v_xor_b32_e32 v9, 0x7fffffff, v7
	v_sub_u32_e32 v10, 0, v7
	v_cmp_lt_u32_e32 vcc, v6, v7
	v_cndmask_b32_e32 v7, v10, v9, vcc
	v_add_u32_e32 v6, v7, v6
	v_mul_hi_u32 v9, v6, s7
	v_add_u32_e32 v7, -1, v6
	v_cvt_f32_u32_e32 v7, v7
	v_lshrrev_b32_e32 v9, 15, v9
	v_mul_u32_u24_e32 v10, 0xadc8, v9
	v_sub_u32_e32 v6, v6, v10
	v_mul_lo_u32 v6, v6, s8
	v_mul_u32_u24_e32 v9, 0xd47, v9
	v_xor_b32_e32 v10, 0x7fffffff, v9
	v_sub_u32_e32 v22, 0, v9
	v_cmp_lt_u32_e32 vcc, v6, v9
	v_cndmask_b32_e32 v9, v22, v10, vcc
	v_add_u32_e32 v6, v9, v6
	v_mul_hi_u32 v10, v6, s7
	v_add_u32_e32 v9, -1, v6
	v_cvt_f32_u32_e32 v9, v9
	v_fma_f32 v7, v7, s9, 0
	v_lshrrev_b32_e32 v10, 15, v10
	v_mul_u32_u24_e32 v22, 0xadc8, v10
	v_fma_f32 v9, v9, s9, 0
	v_sub_u32_e32 v6, v6, v22
	v_mul_f32_e32 v9, v9, v9
	v_mul_lo_u32 v6, v6, s8
	v_fmac_f32_e32 v9, v7, v7
	v_mul_f32_e32 v7, 0x4f800000, v9
	v_cmp_gt_f32_e32 vcc, s14, v9
	v_mul_u32_u24_e32 v10, 0xd47, v10
	v_cndmask_b32_e32 v7, v9, v7, vcc
	v_xor_b32_e32 v22, 0x7fffffff, v10
	v_sub_u32_e32 v23, 0, v10
	v_sqrt_f32_e32 v9, v7
	v_cmp_lt_u32_e64 s[4:5], v6, v10
	v_cndmask_b32_e64 v10, v23, v22, s[4:5]
	v_add_u32_e32 v6, v10, v6
	v_mul_hi_u32 v22, v6, s7
	v_add_u32_e32 v23, -1, v9
	v_add_u32_e32 v24, 1, v9
	v_fma_f32 v25, -v23, v9, v7
	v_fma_f32 v26, -v24, v9, v7
	v_cmp_ge_f32_e64 s[4:5], 0, v25
	v_cndmask_b32_e64 v9, v9, v23, s[4:5]
	v_cmp_lt_f32_e64 s[4:5], 0, v26
	v_lshrrev_b32_e32 v22, 15, v22
	v_cndmask_b32_e64 v9, v9, v24, s[4:5]
	v_mul_u32_u24_e32 v24, 0xadc8, v22
	v_add_u32_e32 v10, -1, v6
	v_sub_u32_e32 v6, v6, v24
	v_mul_f32_e32 v23, 0x37800000, v9
	v_mul_lo_u32 v6, v6, s8
	v_cndmask_b32_e32 v9, v9, v23, vcc
	v_cmp_class_f32_e32 vcc, v7, v5
	v_cndmask_b32_e32 v7, v9, v7, vcc
	v_mul_u32_u24_e32 v22, 0xd47, v22
	v_cmp_nge_f32_e32 vcc, 1.0, v7
	v_xor_b32_e32 v23, 0x7fffffff, v22
	v_sub_u32_e32 v24, 0, v22
	v_cndmask_b32_e32 v7, v8, v21, vcc
	v_cmp_lt_u32_e32 vcc, v6, v22
	v_cndmask_b32_e32 v9, v24, v23, vcc
	v_add_u32_e32 v6, v9, v6
	v_add_u32_e32 v9, -1, v6
	v_cvt_f32_u32_e32 v9, v9
	v_cvt_f32_u32_e32 v10, v10
	v_add_f32_e32 v8, 1.0, v7
	v_fma_f32 v9, v9, s9, 0
	v_fma_f32 v10, v10, s9, 0
	v_mul_f32_e32 v9, v9, v9
	v_fmac_f32_e32 v9, v10, v10
	v_mul_f32_e32 v10, 0x4f800000, v9
	v_cmp_gt_f32_e32 vcc, s14, v9
	v_cndmask_b32_e32 v9, v9, v10, vcc
	v_sqrt_f32_e32 v10, v9
	v_add_u32_e32 v21, -1, v10
	v_add_u32_e32 v22, 1, v10
	v_fma_f32 v23, -v21, v10, v9
	v_fma_f32 v24, -v22, v10, v9
	v_cmp_ge_f32_e64 s[4:5], 0, v23
	v_cndmask_b32_e64 v10, v10, v21, s[4:5]
	v_cmp_lt_f32_e64 s[4:5], 0, v24
	v_cndmask_b32_e64 v10, v10, v22, s[4:5]
	v_mul_f32_e32 v21, 0x37800000, v10
	v_cndmask_b32_e32 v10, v10, v21, vcc
	v_cmp_class_f32_e32 vcc, v9, v5
	v_cndmask_b32_e32 v9, v10, v9, vcc
	v_cmp_nge_f32_e32 vcc, 1.0, v9
	v_cndmask_b32_e32 v21, v8, v7, vcc
	s_cbranch_scc1 .LBB31_343
; %bb.344:
	v_add_u32_e32 v5, 0xafc800, v4
	v_cmp_ne_u32_e32 vcc, 0, v5
	v_mov_b32_e32 v6, 1
	s_and_saveexec_b64 s[4:5], vcc
	s_cbranch_execz .LBB31_358
; %bb.345:
	v_mov_b32_e32 v6, 0
	v_mov_b32_e32 v9, 1
	;; [unrolled: 1-line block ×3, first 2 shown]
	s_mov_b64 s[8:9], 0xbc8f
	v_mov_b32_e32 v10, 0
	s_mov_b64 s[6:7], 0
	s_brev_b32 s17, -2
	v_mov_b32_e32 v7, v5
	s_branch .LBB31_347
.LBB31_346:                             ;   in Loop: Header=BB31_347 Depth=1
	s_or_b64 exec, exec, s[14:15]
	s_mul_i32 s9, s8, s9
	s_mul_hi_u32 s14, s8, s8
	s_add_i32 s14, s14, s9
	s_add_i32 s14, s14, s9
	s_mul_i32 s15, s8, s8
	s_mul_i32 s9, s14, 3
	s_mul_hi_u32 s18, s15, 3
	s_mul_hi_u32 s8, s14, 3
	s_add_u32 s9, s9, s18
	s_addc_u32 s8, s8, 0
	s_mul_i32 s19, s15, 0x80000001
	s_mul_hi_u32 s18, s15, 0x80000001
	s_add_u32 s9, s19, s9
	s_addc_u32 s9, s18, 0
	s_add_u32 s8, s8, s9
	s_addc_u32 s9, 0, 0
	s_mul_i32 s19, s14, 0x80000001
	s_mul_hi_u32 s18, s14, 0x80000001
	s_add_u32 s8, s19, s8
	s_addc_u32 s9, s18, s9
	s_lshr_b32 s18, s9, 30
	s_lshr_b64 s[8:9], s[8:9], 30
	s_mul_i32 s18, s18, 0x7fffffff
	s_mul_hi_u32 s9, s8, 0x7fffffff
	v_lshrrev_b64 v[22:23], 1, v[7:8]
	s_add_i32 s9, s9, s18
	s_mul_i32 s8, s8, 0x7fffffff
	s_sub_u32 s8, s15, s8
	v_cmp_gt_u64_e32 vcc, 2, v[7:8]
	s_subb_u32 s9, s14, s9
	v_mov_b32_e32 v7, v22
	s_or_b64 s[6:7], vcc, s[6:7]
	v_mov_b32_e32 v8, v23
	s_andn2_b64 exec, exec, s[6:7]
	s_cbranch_execz .LBB31_357
.LBB31_347:                             ; =>This Inner Loop Header: Depth=1
	v_and_b32_e32 v5, 1, v7
	v_cmp_eq_u32_e32 vcc, 1, v5
	s_and_saveexec_b64 s[14:15], vcc
	s_cbranch_execz .LBB31_346
; %bb.348:                              ;   in Loop: Header=BB31_347 Depth=1
	v_mad_u64_u32 v[22:23], s[18:19], s8, v9, 0
	v_mul_lo_u32 v9, s9, v9
	v_mul_lo_u32 v10, s8, v10
	v_mul_hi_u32 v5, v22, 5
	v_add3_u32 v25, v23, v10, v9
	v_mad_u64_u32 v[9:10], s[18:19], v25, 5, v[5:6]
	v_mov_b32_e32 v5, v9
	v_mad_u64_u32 v[23:24], s[18:19], v22, 2, v[5:6]
	v_add_co_u32_e32 v9, vcc, v10, v24
	v_addc_co_u32_e64 v10, s[18:19], 0, 0, vcc
	v_mad_u64_u32 v[9:10], s[18:19], v25, 2, v[9:10]
	v_sub_co_u32_e32 v23, vcc, v22, v9
	v_subb_co_u32_e32 v24, vcc, v25, v10, vcc
	v_lshrrev_b64 v[23:24], 1, v[23:24]
	v_add_co_u32_e32 v5, vcc, v23, v9
	v_addc_co_u32_e32 v23, vcc, v24, v10, vcc
	v_alignbit_b32 v5, v23, v5, 30
	v_mad_u64_u32 v[9:10], s[18:19], v5, s17, 0
	v_lshrrev_b32_e32 v23, 30, v23
	v_mov_b32_e32 v5, v10
	v_mad_u64_u32 v[23:24], s[18:19], v23, s17, v[5:6]
	v_sub_co_u32_e32 v9, vcc, v22, v9
	v_subb_co_u32_e32 v10, vcc, v25, v23, vcc
	s_branch .LBB31_346
.LBB31_349:
	s_or_b64 exec, exec, s[6:7]
	v_add_u32_e32 v7, 0x80000001, v11
	v_min_u32_e32 v7, v7, v11
	v_add_u32_e32 v8, 0x80000001, v7
	v_min_u32_e32 v8, v8, v7
.LBB31_350:
	s_or_b64 exec, exec, s[4:5]
	v_mov_b32_e32 v24, 0
	s_movk_i32 s6, 0x1388
	s_mov_b32 s7, 0xbc8f1391
	s_mov_b32 s8, 0xbc8f
	s_brev_b32 s9, 12
	s_mov_b32 s14, 0xf800000
	v_mov_b32_e32 v7, 0x260
.LBB31_351:                             ; =>This Inner Loop Header: Depth=1
	v_mul_hi_u32 v9, v8, s7
	v_add_f32_e32 v10, 1.0, v24
	s_add_i32 s6, s6, -2
	s_cmp_lg_u32 s6, 0
	v_lshrrev_b32_e32 v9, 15, v9
	v_mul_u32_u24_e32 v11, 0xadc8, v9
	v_sub_u32_e32 v8, v8, v11
	v_mul_lo_u32 v8, v8, s8
	v_mul_u32_u24_e32 v9, 0xd47, v9
	v_xor_b32_e32 v11, 0x7fffffff, v9
	v_sub_u32_e32 v12, 0, v9
	v_cmp_lt_u32_e32 vcc, v8, v9
	v_cndmask_b32_e32 v9, v12, v11, vcc
	v_add_u32_e32 v8, v9, v8
	v_mul_hi_u32 v11, v8, s7
	v_add_u32_e32 v9, -1, v8
	v_cvt_f32_u32_e32 v9, v9
	v_lshrrev_b32_e32 v11, 15, v11
	v_mul_u32_u24_e32 v12, 0xadc8, v11
	v_sub_u32_e32 v8, v8, v12
	v_mul_lo_u32 v8, v8, s8
	v_mul_u32_u24_e32 v11, 0xd47, v11
	v_xor_b32_e32 v12, 0x7fffffff, v11
	v_sub_u32_e32 v25, 0, v11
	v_cmp_lt_u32_e32 vcc, v8, v11
	v_cndmask_b32_e32 v11, v25, v12, vcc
	v_add_u32_e32 v8, v11, v8
	v_mul_hi_u32 v12, v8, s7
	v_add_u32_e32 v11, -1, v8
	v_cvt_f32_u32_e32 v11, v11
	v_fma_f32 v9, v9, s9, 0
	v_lshrrev_b32_e32 v12, 15, v12
	v_mul_u32_u24_e32 v25, 0xadc8, v12
	v_fma_f32 v11, v11, s9, 0
	v_sub_u32_e32 v8, v8, v25
	v_mul_f32_e32 v11, v11, v11
	v_mul_lo_u32 v8, v8, s8
	v_fmac_f32_e32 v11, v9, v9
	v_mul_f32_e32 v9, 0x4f800000, v11
	v_cmp_gt_f32_e32 vcc, s14, v11
	v_mul_u32_u24_e32 v12, 0xd47, v12
	v_cndmask_b32_e32 v9, v11, v9, vcc
	v_xor_b32_e32 v25, 0x7fffffff, v12
	v_sub_u32_e32 v26, 0, v12
	v_sqrt_f32_e32 v11, v9
	v_cmp_lt_u32_e64 s[4:5], v8, v12
	v_cndmask_b32_e64 v12, v26, v25, s[4:5]
	v_add_u32_e32 v8, v12, v8
	v_mul_hi_u32 v25, v8, s7
	v_add_u32_e32 v26, -1, v11
	v_add_u32_e32 v27, 1, v11
	v_fma_f32 v28, -v26, v11, v9
	v_fma_f32 v29, -v27, v11, v9
	v_cmp_ge_f32_e64 s[4:5], 0, v28
	v_cndmask_b32_e64 v11, v11, v26, s[4:5]
	v_cmp_lt_f32_e64 s[4:5], 0, v29
	v_lshrrev_b32_e32 v25, 15, v25
	v_cndmask_b32_e64 v11, v11, v27, s[4:5]
	v_mul_u32_u24_e32 v27, 0xadc8, v25
	v_add_u32_e32 v12, -1, v8
	v_sub_u32_e32 v8, v8, v27
	v_mul_f32_e32 v26, 0x37800000, v11
	v_mul_lo_u32 v8, v8, s8
	v_cndmask_b32_e32 v11, v11, v26, vcc
	v_cmp_class_f32_e32 vcc, v9, v7
	v_cndmask_b32_e32 v9, v11, v9, vcc
	v_mul_u32_u24_e32 v25, 0xd47, v25
	v_cmp_nge_f32_e32 vcc, 1.0, v9
	v_xor_b32_e32 v26, 0x7fffffff, v25
	v_sub_u32_e32 v27, 0, v25
	v_cndmask_b32_e32 v9, v10, v24, vcc
	v_cmp_lt_u32_e32 vcc, v8, v25
	v_cndmask_b32_e32 v11, v27, v26, vcc
	v_add_u32_e32 v8, v11, v8
	v_add_u32_e32 v11, -1, v8
	v_cvt_f32_u32_e32 v11, v11
	v_cvt_f32_u32_e32 v12, v12
	v_add_f32_e32 v10, 1.0, v9
	v_fma_f32 v11, v11, s9, 0
	v_fma_f32 v12, v12, s9, 0
	v_mul_f32_e32 v11, v11, v11
	v_fmac_f32_e32 v11, v12, v12
	v_mul_f32_e32 v12, 0x4f800000, v11
	v_cmp_gt_f32_e32 vcc, s14, v11
	v_cndmask_b32_e32 v11, v11, v12, vcc
	v_sqrt_f32_e32 v12, v11
	v_add_u32_e32 v24, -1, v12
	v_add_u32_e32 v25, 1, v12
	v_fma_f32 v26, -v24, v12, v11
	v_fma_f32 v27, -v25, v12, v11
	v_cmp_ge_f32_e64 s[4:5], 0, v26
	v_cndmask_b32_e64 v12, v12, v24, s[4:5]
	v_cmp_lt_f32_e64 s[4:5], 0, v27
	v_cndmask_b32_e64 v12, v12, v25, s[4:5]
	v_mul_f32_e32 v24, 0x37800000, v12
	v_cndmask_b32_e32 v12, v12, v24, vcc
	v_cmp_class_f32_e32 vcc, v11, v7
	v_cndmask_b32_e32 v11, v12, v11, vcc
	v_cmp_nge_f32_e32 vcc, 1.0, v11
	v_cndmask_b32_e32 v24, v10, v9, vcc
	s_cbranch_scc1 .LBB31_351
; %bb.352:
	v_add_u32_e32 v7, 0xc35000, v6
	v_cmp_ne_u32_e32 vcc, 0, v7
	v_mov_b32_e32 v8, 1
	s_and_saveexec_b64 s[4:5], vcc
	s_cbranch_execz .LBB31_366
; %bb.353:
	v_mov_b32_e32 v8, 0
	v_mov_b32_e32 v11, 1
	;; [unrolled: 1-line block ×3, first 2 shown]
	s_mov_b64 s[8:9], 0xbc8f
	v_mov_b32_e32 v12, 0
	s_mov_b64 s[6:7], 0
	s_brev_b32 s17, -2
	v_mov_b32_e32 v9, v7
	s_branch .LBB31_355
.LBB31_354:                             ;   in Loop: Header=BB31_355 Depth=1
	s_or_b64 exec, exec, s[14:15]
	s_mul_i32 s9, s8, s9
	s_mul_hi_u32 s14, s8, s8
	s_add_i32 s14, s14, s9
	s_add_i32 s14, s14, s9
	s_mul_i32 s15, s8, s8
	s_mul_i32 s9, s14, 3
	s_mul_hi_u32 s18, s15, 3
	s_mul_hi_u32 s8, s14, 3
	s_add_u32 s9, s9, s18
	s_addc_u32 s8, s8, 0
	s_mul_i32 s19, s15, 0x80000001
	s_mul_hi_u32 s18, s15, 0x80000001
	s_add_u32 s9, s19, s9
	s_addc_u32 s9, s18, 0
	s_add_u32 s8, s8, s9
	s_addc_u32 s9, 0, 0
	s_mul_i32 s19, s14, 0x80000001
	s_mul_hi_u32 s18, s14, 0x80000001
	s_add_u32 s8, s19, s8
	s_addc_u32 s9, s18, s9
	s_lshr_b32 s18, s9, 30
	s_lshr_b64 s[8:9], s[8:9], 30
	s_mul_i32 s18, s18, 0x7fffffff
	s_mul_hi_u32 s9, s8, 0x7fffffff
	v_lshrrev_b64 v[25:26], 1, v[9:10]
	s_add_i32 s9, s9, s18
	s_mul_i32 s8, s8, 0x7fffffff
	s_sub_u32 s8, s15, s8
	v_cmp_gt_u64_e32 vcc, 2, v[9:10]
	s_subb_u32 s9, s14, s9
	v_mov_b32_e32 v9, v25
	s_or_b64 s[6:7], vcc, s[6:7]
	v_mov_b32_e32 v10, v26
	s_andn2_b64 exec, exec, s[6:7]
	s_cbranch_execz .LBB31_365
.LBB31_355:                             ; =>This Inner Loop Header: Depth=1
	v_and_b32_e32 v7, 1, v9
	v_cmp_eq_u32_e32 vcc, 1, v7
	s_and_saveexec_b64 s[14:15], vcc
	s_cbranch_execz .LBB31_354
; %bb.356:                              ;   in Loop: Header=BB31_355 Depth=1
	v_mad_u64_u32 v[25:26], s[18:19], s8, v11, 0
	v_mul_lo_u32 v11, s9, v11
	v_mul_lo_u32 v12, s8, v12
	v_mul_hi_u32 v7, v25, 5
	v_add3_u32 v28, v26, v12, v11
	v_mad_u64_u32 v[11:12], s[18:19], v28, 5, v[7:8]
	v_mov_b32_e32 v7, v11
	v_mad_u64_u32 v[26:27], s[18:19], v25, 2, v[7:8]
	v_add_co_u32_e32 v11, vcc, v12, v27
	v_addc_co_u32_e64 v12, s[18:19], 0, 0, vcc
	v_mad_u64_u32 v[11:12], s[18:19], v28, 2, v[11:12]
	v_sub_co_u32_e32 v26, vcc, v25, v11
	v_subb_co_u32_e32 v27, vcc, v28, v12, vcc
	v_lshrrev_b64 v[26:27], 1, v[26:27]
	v_add_co_u32_e32 v7, vcc, v26, v11
	v_addc_co_u32_e32 v26, vcc, v27, v12, vcc
	v_alignbit_b32 v7, v26, v7, 30
	v_mad_u64_u32 v[11:12], s[18:19], v7, s17, 0
	v_lshrrev_b32_e32 v26, 30, v26
	v_mov_b32_e32 v7, v12
	v_mad_u64_u32 v[26:27], s[18:19], v26, s17, v[7:8]
	v_sub_co_u32_e32 v11, vcc, v25, v11
	v_subb_co_u32_e32 v12, vcc, v28, v26, vcc
	s_branch .LBB31_354
.LBB31_357:
	s_or_b64 exec, exec, s[6:7]
	v_add_u32_e32 v5, 0x80000001, v9
	v_min_u32_e32 v5, v5, v9
	v_add_u32_e32 v6, 0x80000001, v5
	v_min_u32_e32 v6, v6, v5
.LBB31_358:
	s_or_b64 exec, exec, s[4:5]
	v_mov_b32_e32 v22, 0
	s_movk_i32 s6, 0x1388
	s_mov_b32 s7, 0xbc8f1391
	s_mov_b32 s8, 0xbc8f
	s_brev_b32 s9, 12
	s_mov_b32 s14, 0xf800000
	v_mov_b32_e32 v5, 0x260
.LBB31_359:                             ; =>This Inner Loop Header: Depth=1
	v_mul_hi_u32 v7, v6, s7
	v_add_f32_e32 v8, 1.0, v22
	s_add_i32 s6, s6, -2
	s_cmp_lg_u32 s6, 0
	v_lshrrev_b32_e32 v7, 15, v7
	v_mul_u32_u24_e32 v9, 0xadc8, v7
	v_sub_u32_e32 v6, v6, v9
	v_mul_lo_u32 v6, v6, s8
	v_mul_u32_u24_e32 v7, 0xd47, v7
	v_xor_b32_e32 v9, 0x7fffffff, v7
	v_sub_u32_e32 v10, 0, v7
	v_cmp_lt_u32_e32 vcc, v6, v7
	v_cndmask_b32_e32 v7, v10, v9, vcc
	v_add_u32_e32 v6, v7, v6
	v_mul_hi_u32 v9, v6, s7
	v_add_u32_e32 v7, -1, v6
	v_cvt_f32_u32_e32 v7, v7
	v_lshrrev_b32_e32 v9, 15, v9
	v_mul_u32_u24_e32 v10, 0xadc8, v9
	v_sub_u32_e32 v6, v6, v10
	v_mul_lo_u32 v6, v6, s8
	v_mul_u32_u24_e32 v9, 0xd47, v9
	v_xor_b32_e32 v10, 0x7fffffff, v9
	v_sub_u32_e32 v23, 0, v9
	v_cmp_lt_u32_e32 vcc, v6, v9
	v_cndmask_b32_e32 v9, v23, v10, vcc
	v_add_u32_e32 v6, v9, v6
	v_mul_hi_u32 v10, v6, s7
	v_add_u32_e32 v9, -1, v6
	v_cvt_f32_u32_e32 v9, v9
	v_fma_f32 v7, v7, s9, 0
	v_lshrrev_b32_e32 v10, 15, v10
	v_mul_u32_u24_e32 v23, 0xadc8, v10
	v_fma_f32 v9, v9, s9, 0
	v_sub_u32_e32 v6, v6, v23
	v_mul_f32_e32 v9, v9, v9
	v_mul_lo_u32 v6, v6, s8
	v_fmac_f32_e32 v9, v7, v7
	v_mul_f32_e32 v7, 0x4f800000, v9
	v_cmp_gt_f32_e32 vcc, s14, v9
	v_mul_u32_u24_e32 v10, 0xd47, v10
	v_cndmask_b32_e32 v7, v9, v7, vcc
	v_xor_b32_e32 v23, 0x7fffffff, v10
	v_sub_u32_e32 v24, 0, v10
	v_sqrt_f32_e32 v9, v7
	v_cmp_lt_u32_e64 s[4:5], v6, v10
	v_cndmask_b32_e64 v10, v24, v23, s[4:5]
	v_add_u32_e32 v6, v10, v6
	v_mul_hi_u32 v23, v6, s7
	v_add_u32_e32 v24, -1, v9
	v_add_u32_e32 v25, 1, v9
	v_fma_f32 v26, -v24, v9, v7
	v_fma_f32 v27, -v25, v9, v7
	v_cmp_ge_f32_e64 s[4:5], 0, v26
	v_cndmask_b32_e64 v9, v9, v24, s[4:5]
	v_cmp_lt_f32_e64 s[4:5], 0, v27
	v_lshrrev_b32_e32 v23, 15, v23
	v_cndmask_b32_e64 v9, v9, v25, s[4:5]
	v_mul_u32_u24_e32 v25, 0xadc8, v23
	v_add_u32_e32 v10, -1, v6
	v_sub_u32_e32 v6, v6, v25
	v_mul_f32_e32 v24, 0x37800000, v9
	v_mul_lo_u32 v6, v6, s8
	v_cndmask_b32_e32 v9, v9, v24, vcc
	v_cmp_class_f32_e32 vcc, v7, v5
	v_cndmask_b32_e32 v7, v9, v7, vcc
	v_mul_u32_u24_e32 v23, 0xd47, v23
	v_cmp_nge_f32_e32 vcc, 1.0, v7
	v_xor_b32_e32 v24, 0x7fffffff, v23
	v_sub_u32_e32 v25, 0, v23
	v_cndmask_b32_e32 v7, v8, v22, vcc
	v_cmp_lt_u32_e32 vcc, v6, v23
	v_cndmask_b32_e32 v9, v25, v24, vcc
	v_add_u32_e32 v6, v9, v6
	v_add_u32_e32 v9, -1, v6
	v_cvt_f32_u32_e32 v9, v9
	v_cvt_f32_u32_e32 v10, v10
	v_add_f32_e32 v8, 1.0, v7
	v_fma_f32 v9, v9, s9, 0
	v_fma_f32 v10, v10, s9, 0
	v_mul_f32_e32 v9, v9, v9
	v_fmac_f32_e32 v9, v10, v10
	v_mul_f32_e32 v10, 0x4f800000, v9
	v_cmp_gt_f32_e32 vcc, s14, v9
	v_cndmask_b32_e32 v9, v9, v10, vcc
	v_sqrt_f32_e32 v10, v9
	v_add_u32_e32 v22, -1, v10
	v_add_u32_e32 v23, 1, v10
	v_fma_f32 v24, -v22, v10, v9
	v_fma_f32 v25, -v23, v10, v9
	v_cmp_ge_f32_e64 s[4:5], 0, v24
	v_cndmask_b32_e64 v10, v10, v22, s[4:5]
	v_cmp_lt_f32_e64 s[4:5], 0, v25
	v_cndmask_b32_e64 v10, v10, v23, s[4:5]
	v_mul_f32_e32 v22, 0x37800000, v10
	v_cndmask_b32_e32 v10, v10, v22, vcc
	v_cmp_class_f32_e32 vcc, v9, v5
	v_cndmask_b32_e32 v9, v10, v9, vcc
	v_cmp_nge_f32_e32 vcc, 1.0, v9
	v_cndmask_b32_e32 v22, v8, v7, vcc
	s_cbranch_scc1 .LBB31_359
; %bb.360:
	v_add_u32_e32 v5, 0xc35000, v4
	v_cmp_ne_u32_e32 vcc, 0, v5
	v_mov_b32_e32 v6, 1
	s_and_saveexec_b64 s[4:5], vcc
	s_cbranch_execz .LBB31_374
; %bb.361:
	v_mov_b32_e32 v6, 0
	v_mov_b32_e32 v9, 1
	;; [unrolled: 1-line block ×3, first 2 shown]
	s_mov_b64 s[8:9], 0xbc8f
	v_mov_b32_e32 v10, 0
	s_mov_b64 s[6:7], 0
	s_brev_b32 s17, -2
	v_mov_b32_e32 v7, v5
	s_branch .LBB31_363
.LBB31_362:                             ;   in Loop: Header=BB31_363 Depth=1
	s_or_b64 exec, exec, s[14:15]
	s_mul_i32 s9, s8, s9
	s_mul_hi_u32 s14, s8, s8
	s_add_i32 s14, s14, s9
	s_add_i32 s14, s14, s9
	s_mul_i32 s15, s8, s8
	s_mul_i32 s9, s14, 3
	s_mul_hi_u32 s18, s15, 3
	s_mul_hi_u32 s8, s14, 3
	s_add_u32 s9, s9, s18
	s_addc_u32 s8, s8, 0
	s_mul_i32 s19, s15, 0x80000001
	s_mul_hi_u32 s18, s15, 0x80000001
	s_add_u32 s9, s19, s9
	s_addc_u32 s9, s18, 0
	s_add_u32 s8, s8, s9
	s_addc_u32 s9, 0, 0
	s_mul_i32 s19, s14, 0x80000001
	s_mul_hi_u32 s18, s14, 0x80000001
	s_add_u32 s8, s19, s8
	s_addc_u32 s9, s18, s9
	s_lshr_b32 s18, s9, 30
	s_lshr_b64 s[8:9], s[8:9], 30
	s_mul_i32 s18, s18, 0x7fffffff
	s_mul_hi_u32 s9, s8, 0x7fffffff
	v_lshrrev_b64 v[23:24], 1, v[7:8]
	s_add_i32 s9, s9, s18
	s_mul_i32 s8, s8, 0x7fffffff
	s_sub_u32 s8, s15, s8
	v_cmp_gt_u64_e32 vcc, 2, v[7:8]
	s_subb_u32 s9, s14, s9
	v_mov_b32_e32 v7, v23
	s_or_b64 s[6:7], vcc, s[6:7]
	v_mov_b32_e32 v8, v24
	s_andn2_b64 exec, exec, s[6:7]
	s_cbranch_execz .LBB31_373
.LBB31_363:                             ; =>This Inner Loop Header: Depth=1
	v_and_b32_e32 v5, 1, v7
	v_cmp_eq_u32_e32 vcc, 1, v5
	s_and_saveexec_b64 s[14:15], vcc
	s_cbranch_execz .LBB31_362
; %bb.364:                              ;   in Loop: Header=BB31_363 Depth=1
	v_mad_u64_u32 v[23:24], s[18:19], s8, v9, 0
	v_mul_lo_u32 v9, s9, v9
	v_mul_lo_u32 v10, s8, v10
	v_mul_hi_u32 v5, v23, 5
	v_add3_u32 v26, v24, v10, v9
	v_mad_u64_u32 v[9:10], s[18:19], v26, 5, v[5:6]
	v_mov_b32_e32 v5, v9
	v_mad_u64_u32 v[24:25], s[18:19], v23, 2, v[5:6]
	v_add_co_u32_e32 v9, vcc, v10, v25
	v_addc_co_u32_e64 v10, s[18:19], 0, 0, vcc
	v_mad_u64_u32 v[9:10], s[18:19], v26, 2, v[9:10]
	v_sub_co_u32_e32 v24, vcc, v23, v9
	v_subb_co_u32_e32 v25, vcc, v26, v10, vcc
	v_lshrrev_b64 v[24:25], 1, v[24:25]
	v_add_co_u32_e32 v5, vcc, v24, v9
	v_addc_co_u32_e32 v24, vcc, v25, v10, vcc
	v_alignbit_b32 v5, v24, v5, 30
	v_mad_u64_u32 v[9:10], s[18:19], v5, s17, 0
	v_lshrrev_b32_e32 v24, 30, v24
	v_mov_b32_e32 v5, v10
	v_mad_u64_u32 v[24:25], s[18:19], v24, s17, v[5:6]
	v_sub_co_u32_e32 v9, vcc, v23, v9
	v_subb_co_u32_e32 v10, vcc, v26, v24, vcc
	s_branch .LBB31_362
.LBB31_365:
	s_or_b64 exec, exec, s[6:7]
	v_add_u32_e32 v7, 0x80000001, v11
	v_min_u32_e32 v7, v7, v11
	v_add_u32_e32 v8, 0x80000001, v7
	v_min_u32_e32 v8, v8, v7
.LBB31_366:
	s_or_b64 exec, exec, s[4:5]
	v_mov_b32_e32 v25, 0
	s_movk_i32 s6, 0x1388
	s_mov_b32 s7, 0xbc8f1391
	s_mov_b32 s8, 0xbc8f
	s_brev_b32 s9, 12
	s_mov_b32 s14, 0xf800000
	v_mov_b32_e32 v7, 0x260
.LBB31_367:                             ; =>This Inner Loop Header: Depth=1
	v_mul_hi_u32 v9, v8, s7
	v_add_f32_e32 v10, 1.0, v25
	s_add_i32 s6, s6, -2
	s_cmp_lg_u32 s6, 0
	v_lshrrev_b32_e32 v9, 15, v9
	v_mul_u32_u24_e32 v11, 0xadc8, v9
	v_sub_u32_e32 v8, v8, v11
	v_mul_lo_u32 v8, v8, s8
	v_mul_u32_u24_e32 v9, 0xd47, v9
	v_xor_b32_e32 v11, 0x7fffffff, v9
	v_sub_u32_e32 v12, 0, v9
	v_cmp_lt_u32_e32 vcc, v8, v9
	v_cndmask_b32_e32 v9, v12, v11, vcc
	v_add_u32_e32 v8, v9, v8
	v_mul_hi_u32 v11, v8, s7
	v_add_u32_e32 v9, -1, v8
	v_cvt_f32_u32_e32 v9, v9
	v_lshrrev_b32_e32 v11, 15, v11
	v_mul_u32_u24_e32 v12, 0xadc8, v11
	v_sub_u32_e32 v8, v8, v12
	v_mul_lo_u32 v8, v8, s8
	v_mul_u32_u24_e32 v11, 0xd47, v11
	v_xor_b32_e32 v12, 0x7fffffff, v11
	v_sub_u32_e32 v26, 0, v11
	v_cmp_lt_u32_e32 vcc, v8, v11
	v_cndmask_b32_e32 v11, v26, v12, vcc
	v_add_u32_e32 v8, v11, v8
	v_mul_hi_u32 v12, v8, s7
	v_add_u32_e32 v11, -1, v8
	v_cvt_f32_u32_e32 v11, v11
	v_fma_f32 v9, v9, s9, 0
	v_lshrrev_b32_e32 v12, 15, v12
	v_mul_u32_u24_e32 v26, 0xadc8, v12
	v_fma_f32 v11, v11, s9, 0
	v_sub_u32_e32 v8, v8, v26
	v_mul_f32_e32 v11, v11, v11
	v_mul_lo_u32 v8, v8, s8
	v_fmac_f32_e32 v11, v9, v9
	v_mul_f32_e32 v9, 0x4f800000, v11
	v_cmp_gt_f32_e32 vcc, s14, v11
	v_mul_u32_u24_e32 v12, 0xd47, v12
	v_cndmask_b32_e32 v9, v11, v9, vcc
	v_xor_b32_e32 v26, 0x7fffffff, v12
	v_sub_u32_e32 v27, 0, v12
	v_sqrt_f32_e32 v11, v9
	v_cmp_lt_u32_e64 s[4:5], v8, v12
	v_cndmask_b32_e64 v12, v27, v26, s[4:5]
	v_add_u32_e32 v8, v12, v8
	v_mul_hi_u32 v26, v8, s7
	v_add_u32_e32 v27, -1, v11
	v_add_u32_e32 v28, 1, v11
	v_fma_f32 v29, -v27, v11, v9
	v_fma_f32 v30, -v28, v11, v9
	v_cmp_ge_f32_e64 s[4:5], 0, v29
	v_cndmask_b32_e64 v11, v11, v27, s[4:5]
	v_cmp_lt_f32_e64 s[4:5], 0, v30
	v_lshrrev_b32_e32 v26, 15, v26
	v_cndmask_b32_e64 v11, v11, v28, s[4:5]
	v_mul_u32_u24_e32 v28, 0xadc8, v26
	v_add_u32_e32 v12, -1, v8
	v_sub_u32_e32 v8, v8, v28
	v_mul_f32_e32 v27, 0x37800000, v11
	v_mul_lo_u32 v8, v8, s8
	v_cndmask_b32_e32 v11, v11, v27, vcc
	v_cmp_class_f32_e32 vcc, v9, v7
	v_cndmask_b32_e32 v9, v11, v9, vcc
	v_mul_u32_u24_e32 v26, 0xd47, v26
	v_cmp_nge_f32_e32 vcc, 1.0, v9
	v_xor_b32_e32 v27, 0x7fffffff, v26
	v_sub_u32_e32 v28, 0, v26
	v_cndmask_b32_e32 v9, v10, v25, vcc
	v_cmp_lt_u32_e32 vcc, v8, v26
	v_cndmask_b32_e32 v11, v28, v27, vcc
	v_add_u32_e32 v8, v11, v8
	v_add_u32_e32 v11, -1, v8
	v_cvt_f32_u32_e32 v11, v11
	v_cvt_f32_u32_e32 v12, v12
	v_add_f32_e32 v10, 1.0, v9
	v_fma_f32 v11, v11, s9, 0
	v_fma_f32 v12, v12, s9, 0
	v_mul_f32_e32 v11, v11, v11
	v_fmac_f32_e32 v11, v12, v12
	v_mul_f32_e32 v12, 0x4f800000, v11
	v_cmp_gt_f32_e32 vcc, s14, v11
	v_cndmask_b32_e32 v11, v11, v12, vcc
	v_sqrt_f32_e32 v12, v11
	v_add_u32_e32 v25, -1, v12
	v_add_u32_e32 v26, 1, v12
	v_fma_f32 v27, -v25, v12, v11
	v_fma_f32 v28, -v26, v12, v11
	v_cmp_ge_f32_e64 s[4:5], 0, v27
	v_cndmask_b32_e64 v12, v12, v25, s[4:5]
	v_cmp_lt_f32_e64 s[4:5], 0, v28
	v_cndmask_b32_e64 v12, v12, v26, s[4:5]
	v_mul_f32_e32 v25, 0x37800000, v12
	v_cndmask_b32_e32 v12, v12, v25, vcc
	v_cmp_class_f32_e32 vcc, v11, v7
	v_cndmask_b32_e32 v11, v12, v11, vcc
	v_cmp_nge_f32_e32 vcc, 1.0, v11
	v_cndmask_b32_e32 v25, v10, v9, vcc
	s_cbranch_scc1 .LBB31_367
; %bb.368:
	v_add_u32_e32 v7, 0xd6d800, v6
	v_cmp_ne_u32_e32 vcc, 0, v7
	v_mov_b32_e32 v8, 1
	s_and_saveexec_b64 s[4:5], vcc
	s_cbranch_execz .LBB31_382
; %bb.369:
	v_mov_b32_e32 v8, 0
	v_mov_b32_e32 v11, 1
	;; [unrolled: 1-line block ×3, first 2 shown]
	s_mov_b64 s[8:9], 0xbc8f
	v_mov_b32_e32 v12, 0
	s_mov_b64 s[6:7], 0
	s_brev_b32 s17, -2
	v_mov_b32_e32 v9, v7
	s_branch .LBB31_371
.LBB31_370:                             ;   in Loop: Header=BB31_371 Depth=1
	s_or_b64 exec, exec, s[14:15]
	s_mul_i32 s9, s8, s9
	s_mul_hi_u32 s14, s8, s8
	s_add_i32 s14, s14, s9
	s_add_i32 s14, s14, s9
	s_mul_i32 s15, s8, s8
	s_mul_i32 s9, s14, 3
	s_mul_hi_u32 s18, s15, 3
	s_mul_hi_u32 s8, s14, 3
	s_add_u32 s9, s9, s18
	s_addc_u32 s8, s8, 0
	s_mul_i32 s19, s15, 0x80000001
	s_mul_hi_u32 s18, s15, 0x80000001
	s_add_u32 s9, s19, s9
	s_addc_u32 s9, s18, 0
	s_add_u32 s8, s8, s9
	s_addc_u32 s9, 0, 0
	s_mul_i32 s19, s14, 0x80000001
	s_mul_hi_u32 s18, s14, 0x80000001
	s_add_u32 s8, s19, s8
	s_addc_u32 s9, s18, s9
	s_lshr_b32 s18, s9, 30
	s_lshr_b64 s[8:9], s[8:9], 30
	s_mul_i32 s18, s18, 0x7fffffff
	s_mul_hi_u32 s9, s8, 0x7fffffff
	v_lshrrev_b64 v[26:27], 1, v[9:10]
	s_add_i32 s9, s9, s18
	s_mul_i32 s8, s8, 0x7fffffff
	s_sub_u32 s8, s15, s8
	v_cmp_gt_u64_e32 vcc, 2, v[9:10]
	s_subb_u32 s9, s14, s9
	v_mov_b32_e32 v9, v26
	s_or_b64 s[6:7], vcc, s[6:7]
	v_mov_b32_e32 v10, v27
	s_andn2_b64 exec, exec, s[6:7]
	s_cbranch_execz .LBB31_381
.LBB31_371:                             ; =>This Inner Loop Header: Depth=1
	v_and_b32_e32 v7, 1, v9
	v_cmp_eq_u32_e32 vcc, 1, v7
	s_and_saveexec_b64 s[14:15], vcc
	s_cbranch_execz .LBB31_370
; %bb.372:                              ;   in Loop: Header=BB31_371 Depth=1
	v_mad_u64_u32 v[26:27], s[18:19], s8, v11, 0
	v_mul_lo_u32 v11, s9, v11
	v_mul_lo_u32 v12, s8, v12
	v_mul_hi_u32 v7, v26, 5
	v_add3_u32 v29, v27, v12, v11
	v_mad_u64_u32 v[11:12], s[18:19], v29, 5, v[7:8]
	v_mov_b32_e32 v7, v11
	v_mad_u64_u32 v[27:28], s[18:19], v26, 2, v[7:8]
	v_add_co_u32_e32 v11, vcc, v12, v28
	v_addc_co_u32_e64 v12, s[18:19], 0, 0, vcc
	v_mad_u64_u32 v[11:12], s[18:19], v29, 2, v[11:12]
	v_sub_co_u32_e32 v27, vcc, v26, v11
	v_subb_co_u32_e32 v28, vcc, v29, v12, vcc
	v_lshrrev_b64 v[27:28], 1, v[27:28]
	v_add_co_u32_e32 v7, vcc, v27, v11
	v_addc_co_u32_e32 v27, vcc, v28, v12, vcc
	v_alignbit_b32 v7, v27, v7, 30
	v_mad_u64_u32 v[11:12], s[18:19], v7, s17, 0
	v_lshrrev_b32_e32 v27, 30, v27
	v_mov_b32_e32 v7, v12
	v_mad_u64_u32 v[27:28], s[18:19], v27, s17, v[7:8]
	v_sub_co_u32_e32 v11, vcc, v26, v11
	v_subb_co_u32_e32 v12, vcc, v29, v27, vcc
	s_branch .LBB31_370
.LBB31_373:
	s_or_b64 exec, exec, s[6:7]
	v_add_u32_e32 v5, 0x80000001, v9
	v_min_u32_e32 v5, v5, v9
	v_add_u32_e32 v6, 0x80000001, v5
	v_min_u32_e32 v6, v6, v5
.LBB31_374:
	s_or_b64 exec, exec, s[4:5]
	v_mov_b32_e32 v23, 0
	s_movk_i32 s6, 0x1388
	s_mov_b32 s7, 0xbc8f1391
	s_mov_b32 s8, 0xbc8f
	s_brev_b32 s9, 12
	s_mov_b32 s14, 0xf800000
	v_mov_b32_e32 v5, 0x260
.LBB31_375:                             ; =>This Inner Loop Header: Depth=1
	v_mul_hi_u32 v7, v6, s7
	v_add_f32_e32 v8, 1.0, v23
	s_add_i32 s6, s6, -2
	s_cmp_lg_u32 s6, 0
	v_lshrrev_b32_e32 v7, 15, v7
	v_mul_u32_u24_e32 v9, 0xadc8, v7
	v_sub_u32_e32 v6, v6, v9
	v_mul_lo_u32 v6, v6, s8
	v_mul_u32_u24_e32 v7, 0xd47, v7
	v_xor_b32_e32 v9, 0x7fffffff, v7
	v_sub_u32_e32 v10, 0, v7
	v_cmp_lt_u32_e32 vcc, v6, v7
	v_cndmask_b32_e32 v7, v10, v9, vcc
	v_add_u32_e32 v6, v7, v6
	v_mul_hi_u32 v9, v6, s7
	v_add_u32_e32 v7, -1, v6
	v_cvt_f32_u32_e32 v7, v7
	v_lshrrev_b32_e32 v9, 15, v9
	v_mul_u32_u24_e32 v10, 0xadc8, v9
	v_sub_u32_e32 v6, v6, v10
	v_mul_lo_u32 v6, v6, s8
	v_mul_u32_u24_e32 v9, 0xd47, v9
	v_xor_b32_e32 v10, 0x7fffffff, v9
	v_sub_u32_e32 v24, 0, v9
	v_cmp_lt_u32_e32 vcc, v6, v9
	v_cndmask_b32_e32 v9, v24, v10, vcc
	v_add_u32_e32 v6, v9, v6
	v_mul_hi_u32 v10, v6, s7
	v_add_u32_e32 v9, -1, v6
	v_cvt_f32_u32_e32 v9, v9
	v_fma_f32 v7, v7, s9, 0
	v_lshrrev_b32_e32 v10, 15, v10
	v_mul_u32_u24_e32 v24, 0xadc8, v10
	v_fma_f32 v9, v9, s9, 0
	v_sub_u32_e32 v6, v6, v24
	v_mul_f32_e32 v9, v9, v9
	v_mul_lo_u32 v6, v6, s8
	v_fmac_f32_e32 v9, v7, v7
	v_mul_f32_e32 v7, 0x4f800000, v9
	v_cmp_gt_f32_e32 vcc, s14, v9
	v_mul_u32_u24_e32 v10, 0xd47, v10
	v_cndmask_b32_e32 v7, v9, v7, vcc
	v_xor_b32_e32 v24, 0x7fffffff, v10
	v_sub_u32_e32 v25, 0, v10
	v_sqrt_f32_e32 v9, v7
	v_cmp_lt_u32_e64 s[4:5], v6, v10
	v_cndmask_b32_e64 v10, v25, v24, s[4:5]
	v_add_u32_e32 v6, v10, v6
	v_mul_hi_u32 v24, v6, s7
	v_add_u32_e32 v25, -1, v9
	v_add_u32_e32 v26, 1, v9
	v_fma_f32 v27, -v25, v9, v7
	v_fma_f32 v28, -v26, v9, v7
	v_cmp_ge_f32_e64 s[4:5], 0, v27
	v_cndmask_b32_e64 v9, v9, v25, s[4:5]
	v_cmp_lt_f32_e64 s[4:5], 0, v28
	v_lshrrev_b32_e32 v24, 15, v24
	v_cndmask_b32_e64 v9, v9, v26, s[4:5]
	v_mul_u32_u24_e32 v26, 0xadc8, v24
	v_add_u32_e32 v10, -1, v6
	v_sub_u32_e32 v6, v6, v26
	v_mul_f32_e32 v25, 0x37800000, v9
	v_mul_lo_u32 v6, v6, s8
	v_cndmask_b32_e32 v9, v9, v25, vcc
	v_cmp_class_f32_e32 vcc, v7, v5
	v_cndmask_b32_e32 v7, v9, v7, vcc
	v_mul_u32_u24_e32 v24, 0xd47, v24
	v_cmp_nge_f32_e32 vcc, 1.0, v7
	v_xor_b32_e32 v25, 0x7fffffff, v24
	v_sub_u32_e32 v26, 0, v24
	v_cndmask_b32_e32 v7, v8, v23, vcc
	v_cmp_lt_u32_e32 vcc, v6, v24
	v_cndmask_b32_e32 v9, v26, v25, vcc
	v_add_u32_e32 v6, v9, v6
	v_add_u32_e32 v9, -1, v6
	v_cvt_f32_u32_e32 v9, v9
	v_cvt_f32_u32_e32 v10, v10
	v_add_f32_e32 v8, 1.0, v7
	v_fma_f32 v9, v9, s9, 0
	v_fma_f32 v10, v10, s9, 0
	v_mul_f32_e32 v9, v9, v9
	v_fmac_f32_e32 v9, v10, v10
	v_mul_f32_e32 v10, 0x4f800000, v9
	v_cmp_gt_f32_e32 vcc, s14, v9
	v_cndmask_b32_e32 v9, v9, v10, vcc
	v_sqrt_f32_e32 v10, v9
	v_add_u32_e32 v23, -1, v10
	v_add_u32_e32 v24, 1, v10
	v_fma_f32 v25, -v23, v10, v9
	v_fma_f32 v26, -v24, v10, v9
	v_cmp_ge_f32_e64 s[4:5], 0, v25
	v_cndmask_b32_e64 v10, v10, v23, s[4:5]
	v_cmp_lt_f32_e64 s[4:5], 0, v26
	v_cndmask_b32_e64 v10, v10, v24, s[4:5]
	v_mul_f32_e32 v23, 0x37800000, v10
	v_cndmask_b32_e32 v10, v10, v23, vcc
	v_cmp_class_f32_e32 vcc, v9, v5
	v_cndmask_b32_e32 v9, v10, v9, vcc
	v_cmp_nge_f32_e32 vcc, 1.0, v9
	v_cndmask_b32_e32 v23, v8, v7, vcc
	s_cbranch_scc1 .LBB31_375
; %bb.376:
	v_add_u32_e32 v5, 0xd6d800, v4
	v_cmp_ne_u32_e32 vcc, 0, v5
	v_mov_b32_e32 v6, 1
	s_and_saveexec_b64 s[4:5], vcc
	s_cbranch_execz .LBB31_390
; %bb.377:
	v_mov_b32_e32 v6, 0
	v_mov_b32_e32 v9, 1
	;; [unrolled: 1-line block ×3, first 2 shown]
	s_mov_b64 s[8:9], 0xbc8f
	v_mov_b32_e32 v10, 0
	s_mov_b64 s[6:7], 0
	s_brev_b32 s17, -2
	v_mov_b32_e32 v7, v5
	s_branch .LBB31_379
.LBB31_378:                             ;   in Loop: Header=BB31_379 Depth=1
	s_or_b64 exec, exec, s[14:15]
	s_mul_i32 s9, s8, s9
	s_mul_hi_u32 s14, s8, s8
	s_add_i32 s14, s14, s9
	s_add_i32 s14, s14, s9
	s_mul_i32 s15, s8, s8
	s_mul_i32 s9, s14, 3
	s_mul_hi_u32 s18, s15, 3
	s_mul_hi_u32 s8, s14, 3
	s_add_u32 s9, s9, s18
	s_addc_u32 s8, s8, 0
	s_mul_i32 s19, s15, 0x80000001
	s_mul_hi_u32 s18, s15, 0x80000001
	s_add_u32 s9, s19, s9
	s_addc_u32 s9, s18, 0
	s_add_u32 s8, s8, s9
	s_addc_u32 s9, 0, 0
	s_mul_i32 s19, s14, 0x80000001
	s_mul_hi_u32 s18, s14, 0x80000001
	s_add_u32 s8, s19, s8
	s_addc_u32 s9, s18, s9
	s_lshr_b32 s18, s9, 30
	s_lshr_b64 s[8:9], s[8:9], 30
	s_mul_i32 s18, s18, 0x7fffffff
	s_mul_hi_u32 s9, s8, 0x7fffffff
	v_lshrrev_b64 v[24:25], 1, v[7:8]
	s_add_i32 s9, s9, s18
	s_mul_i32 s8, s8, 0x7fffffff
	s_sub_u32 s8, s15, s8
	v_cmp_gt_u64_e32 vcc, 2, v[7:8]
	s_subb_u32 s9, s14, s9
	v_mov_b32_e32 v7, v24
	s_or_b64 s[6:7], vcc, s[6:7]
	v_mov_b32_e32 v8, v25
	s_andn2_b64 exec, exec, s[6:7]
	s_cbranch_execz .LBB31_389
.LBB31_379:                             ; =>This Inner Loop Header: Depth=1
	v_and_b32_e32 v5, 1, v7
	v_cmp_eq_u32_e32 vcc, 1, v5
	s_and_saveexec_b64 s[14:15], vcc
	s_cbranch_execz .LBB31_378
; %bb.380:                              ;   in Loop: Header=BB31_379 Depth=1
	v_mad_u64_u32 v[24:25], s[18:19], s8, v9, 0
	v_mul_lo_u32 v9, s9, v9
	v_mul_lo_u32 v10, s8, v10
	v_mul_hi_u32 v5, v24, 5
	v_add3_u32 v27, v25, v10, v9
	v_mad_u64_u32 v[9:10], s[18:19], v27, 5, v[5:6]
	v_mov_b32_e32 v5, v9
	v_mad_u64_u32 v[25:26], s[18:19], v24, 2, v[5:6]
	v_add_co_u32_e32 v9, vcc, v10, v26
	v_addc_co_u32_e64 v10, s[18:19], 0, 0, vcc
	v_mad_u64_u32 v[9:10], s[18:19], v27, 2, v[9:10]
	v_sub_co_u32_e32 v25, vcc, v24, v9
	v_subb_co_u32_e32 v26, vcc, v27, v10, vcc
	v_lshrrev_b64 v[25:26], 1, v[25:26]
	v_add_co_u32_e32 v5, vcc, v25, v9
	v_addc_co_u32_e32 v25, vcc, v26, v10, vcc
	v_alignbit_b32 v5, v25, v5, 30
	v_mad_u64_u32 v[9:10], s[18:19], v5, s17, 0
	v_lshrrev_b32_e32 v25, 30, v25
	v_mov_b32_e32 v5, v10
	v_mad_u64_u32 v[25:26], s[18:19], v25, s17, v[5:6]
	v_sub_co_u32_e32 v9, vcc, v24, v9
	v_subb_co_u32_e32 v10, vcc, v27, v25, vcc
	s_branch .LBB31_378
.LBB31_381:
	s_or_b64 exec, exec, s[6:7]
	v_add_u32_e32 v7, 0x80000001, v11
	v_min_u32_e32 v7, v7, v11
	v_add_u32_e32 v8, 0x80000001, v7
	v_min_u32_e32 v8, v8, v7
.LBB31_382:
	s_or_b64 exec, exec, s[4:5]
	v_mov_b32_e32 v26, 0
	s_movk_i32 s6, 0x1388
	s_mov_b32 s7, 0xbc8f1391
	s_mov_b32 s8, 0xbc8f
	s_brev_b32 s9, 12
	s_mov_b32 s14, 0xf800000
	v_mov_b32_e32 v7, 0x260
.LBB31_383:                             ; =>This Inner Loop Header: Depth=1
	v_mul_hi_u32 v9, v8, s7
	v_add_f32_e32 v10, 1.0, v26
	s_add_i32 s6, s6, -2
	s_cmp_lg_u32 s6, 0
	v_lshrrev_b32_e32 v9, 15, v9
	v_mul_u32_u24_e32 v11, 0xadc8, v9
	v_sub_u32_e32 v8, v8, v11
	v_mul_lo_u32 v8, v8, s8
	v_mul_u32_u24_e32 v9, 0xd47, v9
	v_xor_b32_e32 v11, 0x7fffffff, v9
	v_sub_u32_e32 v12, 0, v9
	v_cmp_lt_u32_e32 vcc, v8, v9
	v_cndmask_b32_e32 v9, v12, v11, vcc
	v_add_u32_e32 v8, v9, v8
	v_mul_hi_u32 v11, v8, s7
	v_add_u32_e32 v9, -1, v8
	v_cvt_f32_u32_e32 v9, v9
	v_lshrrev_b32_e32 v11, 15, v11
	v_mul_u32_u24_e32 v12, 0xadc8, v11
	v_sub_u32_e32 v8, v8, v12
	v_mul_lo_u32 v8, v8, s8
	v_mul_u32_u24_e32 v11, 0xd47, v11
	v_xor_b32_e32 v12, 0x7fffffff, v11
	v_sub_u32_e32 v27, 0, v11
	v_cmp_lt_u32_e32 vcc, v8, v11
	v_cndmask_b32_e32 v11, v27, v12, vcc
	v_add_u32_e32 v8, v11, v8
	v_mul_hi_u32 v12, v8, s7
	v_add_u32_e32 v11, -1, v8
	v_cvt_f32_u32_e32 v11, v11
	v_fma_f32 v9, v9, s9, 0
	v_lshrrev_b32_e32 v12, 15, v12
	v_mul_u32_u24_e32 v27, 0xadc8, v12
	v_fma_f32 v11, v11, s9, 0
	v_sub_u32_e32 v8, v8, v27
	v_mul_f32_e32 v11, v11, v11
	v_mul_lo_u32 v8, v8, s8
	v_fmac_f32_e32 v11, v9, v9
	v_mul_f32_e32 v9, 0x4f800000, v11
	v_cmp_gt_f32_e32 vcc, s14, v11
	v_mul_u32_u24_e32 v12, 0xd47, v12
	v_cndmask_b32_e32 v9, v11, v9, vcc
	v_xor_b32_e32 v27, 0x7fffffff, v12
	v_sub_u32_e32 v28, 0, v12
	v_sqrt_f32_e32 v11, v9
	v_cmp_lt_u32_e64 s[4:5], v8, v12
	v_cndmask_b32_e64 v12, v28, v27, s[4:5]
	v_add_u32_e32 v8, v12, v8
	v_mul_hi_u32 v27, v8, s7
	v_add_u32_e32 v28, -1, v11
	v_add_u32_e32 v29, 1, v11
	v_fma_f32 v30, -v28, v11, v9
	v_fma_f32 v32, -v29, v11, v9
	v_cmp_ge_f32_e64 s[4:5], 0, v30
	v_cndmask_b32_e64 v11, v11, v28, s[4:5]
	v_cmp_lt_f32_e64 s[4:5], 0, v32
	v_lshrrev_b32_e32 v27, 15, v27
	v_cndmask_b32_e64 v11, v11, v29, s[4:5]
	v_mul_u32_u24_e32 v29, 0xadc8, v27
	v_add_u32_e32 v12, -1, v8
	v_sub_u32_e32 v8, v8, v29
	v_mul_f32_e32 v28, 0x37800000, v11
	v_mul_lo_u32 v8, v8, s8
	v_cndmask_b32_e32 v11, v11, v28, vcc
	v_cmp_class_f32_e32 vcc, v9, v7
	v_cndmask_b32_e32 v9, v11, v9, vcc
	v_mul_u32_u24_e32 v27, 0xd47, v27
	v_cmp_nge_f32_e32 vcc, 1.0, v9
	v_xor_b32_e32 v28, 0x7fffffff, v27
	v_sub_u32_e32 v29, 0, v27
	v_cndmask_b32_e32 v9, v10, v26, vcc
	v_cmp_lt_u32_e32 vcc, v8, v27
	v_cndmask_b32_e32 v11, v29, v28, vcc
	v_add_u32_e32 v8, v11, v8
	v_add_u32_e32 v11, -1, v8
	v_cvt_f32_u32_e32 v11, v11
	v_cvt_f32_u32_e32 v12, v12
	v_add_f32_e32 v10, 1.0, v9
	v_fma_f32 v11, v11, s9, 0
	v_fma_f32 v12, v12, s9, 0
	v_mul_f32_e32 v11, v11, v11
	v_fmac_f32_e32 v11, v12, v12
	v_mul_f32_e32 v12, 0x4f800000, v11
	v_cmp_gt_f32_e32 vcc, s14, v11
	v_cndmask_b32_e32 v11, v11, v12, vcc
	v_sqrt_f32_e32 v12, v11
	v_add_u32_e32 v26, -1, v12
	v_add_u32_e32 v27, 1, v12
	v_fma_f32 v28, -v26, v12, v11
	v_fma_f32 v29, -v27, v12, v11
	v_cmp_ge_f32_e64 s[4:5], 0, v28
	v_cndmask_b32_e64 v12, v12, v26, s[4:5]
	v_cmp_lt_f32_e64 s[4:5], 0, v29
	v_cndmask_b32_e64 v12, v12, v27, s[4:5]
	v_mul_f32_e32 v26, 0x37800000, v12
	v_cndmask_b32_e32 v12, v12, v26, vcc
	v_cmp_class_f32_e32 vcc, v11, v7
	v_cndmask_b32_e32 v11, v12, v11, vcc
	v_cmp_nge_f32_e32 vcc, 1.0, v11
	v_cndmask_b32_e32 v26, v10, v9, vcc
	s_cbranch_scc1 .LBB31_383
; %bb.384:
	v_add_u32_e32 v7, 0xea6000, v6
	v_cmp_ne_u32_e32 vcc, 0, v7
	v_mov_b32_e32 v8, 1
	s_and_saveexec_b64 s[4:5], vcc
	s_cbranch_execz .LBB31_398
; %bb.385:
	v_mov_b32_e32 v8, 0
	v_mov_b32_e32 v11, 1
	;; [unrolled: 1-line block ×3, first 2 shown]
	s_mov_b64 s[8:9], 0xbc8f
	v_mov_b32_e32 v12, 0
	s_mov_b64 s[6:7], 0
	s_brev_b32 s17, -2
	v_mov_b32_e32 v9, v7
	s_branch .LBB31_387
.LBB31_386:                             ;   in Loop: Header=BB31_387 Depth=1
	s_or_b64 exec, exec, s[14:15]
	s_mul_i32 s9, s8, s9
	s_mul_hi_u32 s14, s8, s8
	s_add_i32 s14, s14, s9
	s_add_i32 s14, s14, s9
	s_mul_i32 s15, s8, s8
	s_mul_i32 s9, s14, 3
	s_mul_hi_u32 s18, s15, 3
	s_mul_hi_u32 s8, s14, 3
	s_add_u32 s9, s9, s18
	s_addc_u32 s8, s8, 0
	s_mul_i32 s19, s15, 0x80000001
	s_mul_hi_u32 s18, s15, 0x80000001
	s_add_u32 s9, s19, s9
	s_addc_u32 s9, s18, 0
	s_add_u32 s8, s8, s9
	s_addc_u32 s9, 0, 0
	s_mul_i32 s19, s14, 0x80000001
	s_mul_hi_u32 s18, s14, 0x80000001
	s_add_u32 s8, s19, s8
	s_addc_u32 s9, s18, s9
	s_lshr_b32 s18, s9, 30
	s_lshr_b64 s[8:9], s[8:9], 30
	s_mul_i32 s18, s18, 0x7fffffff
	s_mul_hi_u32 s9, s8, 0x7fffffff
	v_lshrrev_b64 v[27:28], 1, v[9:10]
	s_add_i32 s9, s9, s18
	s_mul_i32 s8, s8, 0x7fffffff
	s_sub_u32 s8, s15, s8
	v_cmp_gt_u64_e32 vcc, 2, v[9:10]
	s_subb_u32 s9, s14, s9
	v_mov_b32_e32 v9, v27
	s_or_b64 s[6:7], vcc, s[6:7]
	v_mov_b32_e32 v10, v28
	s_andn2_b64 exec, exec, s[6:7]
	s_cbranch_execz .LBB31_397
.LBB31_387:                             ; =>This Inner Loop Header: Depth=1
	v_and_b32_e32 v7, 1, v9
	v_cmp_eq_u32_e32 vcc, 1, v7
	s_and_saveexec_b64 s[14:15], vcc
	s_cbranch_execz .LBB31_386
; %bb.388:                              ;   in Loop: Header=BB31_387 Depth=1
	v_mad_u64_u32 v[27:28], s[18:19], s8, v11, 0
	v_mul_lo_u32 v11, s9, v11
	v_mul_lo_u32 v12, s8, v12
	v_mul_hi_u32 v7, v27, 5
	v_add3_u32 v30, v28, v12, v11
	v_mad_u64_u32 v[11:12], s[18:19], v30, 5, v[7:8]
	v_mov_b32_e32 v7, v11
	v_mad_u64_u32 v[28:29], s[18:19], v27, 2, v[7:8]
	v_add_co_u32_e32 v11, vcc, v12, v29
	v_addc_co_u32_e64 v12, s[18:19], 0, 0, vcc
	v_mad_u64_u32 v[11:12], s[18:19], v30, 2, v[11:12]
	v_sub_co_u32_e32 v28, vcc, v27, v11
	v_subb_co_u32_e32 v29, vcc, v30, v12, vcc
	v_lshrrev_b64 v[28:29], 1, v[28:29]
	v_add_co_u32_e32 v7, vcc, v28, v11
	v_addc_co_u32_e32 v28, vcc, v29, v12, vcc
	v_alignbit_b32 v7, v28, v7, 30
	v_mad_u64_u32 v[11:12], s[18:19], v7, s17, 0
	v_lshrrev_b32_e32 v28, 30, v28
	v_mov_b32_e32 v7, v12
	v_mad_u64_u32 v[28:29], s[18:19], v28, s17, v[7:8]
	v_sub_co_u32_e32 v11, vcc, v27, v11
	v_subb_co_u32_e32 v12, vcc, v30, v28, vcc
	s_branch .LBB31_386
.LBB31_389:
	s_or_b64 exec, exec, s[6:7]
	v_add_u32_e32 v5, 0x80000001, v9
	v_min_u32_e32 v5, v5, v9
	v_add_u32_e32 v6, 0x80000001, v5
	v_min_u32_e32 v6, v6, v5
.LBB31_390:
	s_or_b64 exec, exec, s[4:5]
	v_mov_b32_e32 v24, 0
	s_movk_i32 s6, 0x1388
	s_mov_b32 s7, 0xbc8f1391
	s_mov_b32 s8, 0xbc8f
	s_brev_b32 s9, 12
	s_mov_b32 s14, 0xf800000
	v_mov_b32_e32 v5, 0x260
.LBB31_391:                             ; =>This Inner Loop Header: Depth=1
	v_mul_hi_u32 v7, v6, s7
	v_add_f32_e32 v8, 1.0, v24
	s_add_i32 s6, s6, -2
	s_cmp_lg_u32 s6, 0
	v_lshrrev_b32_e32 v7, 15, v7
	v_mul_u32_u24_e32 v9, 0xadc8, v7
	v_sub_u32_e32 v6, v6, v9
	v_mul_lo_u32 v6, v6, s8
	v_mul_u32_u24_e32 v7, 0xd47, v7
	v_xor_b32_e32 v9, 0x7fffffff, v7
	v_sub_u32_e32 v10, 0, v7
	v_cmp_lt_u32_e32 vcc, v6, v7
	v_cndmask_b32_e32 v7, v10, v9, vcc
	v_add_u32_e32 v6, v7, v6
	v_mul_hi_u32 v9, v6, s7
	v_add_u32_e32 v7, -1, v6
	v_cvt_f32_u32_e32 v7, v7
	v_lshrrev_b32_e32 v9, 15, v9
	v_mul_u32_u24_e32 v10, 0xadc8, v9
	v_sub_u32_e32 v6, v6, v10
	v_mul_lo_u32 v6, v6, s8
	v_mul_u32_u24_e32 v9, 0xd47, v9
	v_xor_b32_e32 v10, 0x7fffffff, v9
	v_sub_u32_e32 v25, 0, v9
	v_cmp_lt_u32_e32 vcc, v6, v9
	v_cndmask_b32_e32 v9, v25, v10, vcc
	v_add_u32_e32 v6, v9, v6
	v_mul_hi_u32 v10, v6, s7
	v_add_u32_e32 v9, -1, v6
	v_cvt_f32_u32_e32 v9, v9
	v_fma_f32 v7, v7, s9, 0
	v_lshrrev_b32_e32 v10, 15, v10
	v_mul_u32_u24_e32 v25, 0xadc8, v10
	v_fma_f32 v9, v9, s9, 0
	v_sub_u32_e32 v6, v6, v25
	v_mul_f32_e32 v9, v9, v9
	v_mul_lo_u32 v6, v6, s8
	v_fmac_f32_e32 v9, v7, v7
	v_mul_f32_e32 v7, 0x4f800000, v9
	v_cmp_gt_f32_e32 vcc, s14, v9
	v_mul_u32_u24_e32 v10, 0xd47, v10
	v_cndmask_b32_e32 v7, v9, v7, vcc
	v_xor_b32_e32 v25, 0x7fffffff, v10
	v_sub_u32_e32 v26, 0, v10
	v_sqrt_f32_e32 v9, v7
	v_cmp_lt_u32_e64 s[4:5], v6, v10
	v_cndmask_b32_e64 v10, v26, v25, s[4:5]
	v_add_u32_e32 v6, v10, v6
	v_mul_hi_u32 v25, v6, s7
	v_add_u32_e32 v26, -1, v9
	v_add_u32_e32 v27, 1, v9
	v_fma_f32 v28, -v26, v9, v7
	v_fma_f32 v29, -v27, v9, v7
	v_cmp_ge_f32_e64 s[4:5], 0, v28
	v_cndmask_b32_e64 v9, v9, v26, s[4:5]
	v_cmp_lt_f32_e64 s[4:5], 0, v29
	v_lshrrev_b32_e32 v25, 15, v25
	v_cndmask_b32_e64 v9, v9, v27, s[4:5]
	v_mul_u32_u24_e32 v27, 0xadc8, v25
	v_add_u32_e32 v10, -1, v6
	v_sub_u32_e32 v6, v6, v27
	v_mul_f32_e32 v26, 0x37800000, v9
	v_mul_lo_u32 v6, v6, s8
	v_cndmask_b32_e32 v9, v9, v26, vcc
	v_cmp_class_f32_e32 vcc, v7, v5
	v_cndmask_b32_e32 v7, v9, v7, vcc
	v_mul_u32_u24_e32 v25, 0xd47, v25
	v_cmp_nge_f32_e32 vcc, 1.0, v7
	v_xor_b32_e32 v26, 0x7fffffff, v25
	v_sub_u32_e32 v27, 0, v25
	v_cndmask_b32_e32 v7, v8, v24, vcc
	v_cmp_lt_u32_e32 vcc, v6, v25
	v_cndmask_b32_e32 v9, v27, v26, vcc
	v_add_u32_e32 v6, v9, v6
	v_add_u32_e32 v9, -1, v6
	v_cvt_f32_u32_e32 v9, v9
	v_cvt_f32_u32_e32 v10, v10
	v_add_f32_e32 v8, 1.0, v7
	v_fma_f32 v9, v9, s9, 0
	v_fma_f32 v10, v10, s9, 0
	v_mul_f32_e32 v9, v9, v9
	v_fmac_f32_e32 v9, v10, v10
	v_mul_f32_e32 v10, 0x4f800000, v9
	v_cmp_gt_f32_e32 vcc, s14, v9
	v_cndmask_b32_e32 v9, v9, v10, vcc
	v_sqrt_f32_e32 v10, v9
	v_add_u32_e32 v24, -1, v10
	v_add_u32_e32 v25, 1, v10
	v_fma_f32 v26, -v24, v10, v9
	v_fma_f32 v27, -v25, v10, v9
	v_cmp_ge_f32_e64 s[4:5], 0, v26
	v_cndmask_b32_e64 v10, v10, v24, s[4:5]
	v_cmp_lt_f32_e64 s[4:5], 0, v27
	v_cndmask_b32_e64 v10, v10, v25, s[4:5]
	v_mul_f32_e32 v24, 0x37800000, v10
	v_cndmask_b32_e32 v10, v10, v24, vcc
	v_cmp_class_f32_e32 vcc, v9, v5
	v_cndmask_b32_e32 v9, v10, v9, vcc
	v_cmp_nge_f32_e32 vcc, 1.0, v9
	v_cndmask_b32_e32 v24, v8, v7, vcc
	s_cbranch_scc1 .LBB31_391
; %bb.392:
	v_add_u32_e32 v5, 0xea6000, v4
	v_cmp_ne_u32_e32 vcc, 0, v5
	v_mov_b32_e32 v6, 1
	s_and_saveexec_b64 s[4:5], vcc
	s_cbranch_execz .LBB31_406
; %bb.393:
	v_mov_b32_e32 v6, 0
	v_mov_b32_e32 v9, 1
	;; [unrolled: 1-line block ×3, first 2 shown]
	s_mov_b64 s[8:9], 0xbc8f
	v_mov_b32_e32 v10, 0
	s_mov_b64 s[6:7], 0
	s_brev_b32 s17, -2
	v_mov_b32_e32 v7, v5
	s_branch .LBB31_395
.LBB31_394:                             ;   in Loop: Header=BB31_395 Depth=1
	s_or_b64 exec, exec, s[14:15]
	s_mul_i32 s9, s8, s9
	s_mul_hi_u32 s14, s8, s8
	s_add_i32 s14, s14, s9
	s_add_i32 s14, s14, s9
	s_mul_i32 s15, s8, s8
	s_mul_i32 s9, s14, 3
	s_mul_hi_u32 s18, s15, 3
	s_mul_hi_u32 s8, s14, 3
	s_add_u32 s9, s9, s18
	s_addc_u32 s8, s8, 0
	s_mul_i32 s19, s15, 0x80000001
	s_mul_hi_u32 s18, s15, 0x80000001
	s_add_u32 s9, s19, s9
	s_addc_u32 s9, s18, 0
	s_add_u32 s8, s8, s9
	s_addc_u32 s9, 0, 0
	s_mul_i32 s19, s14, 0x80000001
	s_mul_hi_u32 s18, s14, 0x80000001
	s_add_u32 s8, s19, s8
	s_addc_u32 s9, s18, s9
	s_lshr_b32 s18, s9, 30
	s_lshr_b64 s[8:9], s[8:9], 30
	s_mul_i32 s18, s18, 0x7fffffff
	s_mul_hi_u32 s9, s8, 0x7fffffff
	v_lshrrev_b64 v[25:26], 1, v[7:8]
	s_add_i32 s9, s9, s18
	s_mul_i32 s8, s8, 0x7fffffff
	s_sub_u32 s8, s15, s8
	v_cmp_gt_u64_e32 vcc, 2, v[7:8]
	s_subb_u32 s9, s14, s9
	v_mov_b32_e32 v7, v25
	s_or_b64 s[6:7], vcc, s[6:7]
	v_mov_b32_e32 v8, v26
	s_andn2_b64 exec, exec, s[6:7]
	s_cbranch_execz .LBB31_405
.LBB31_395:                             ; =>This Inner Loop Header: Depth=1
	v_and_b32_e32 v5, 1, v7
	v_cmp_eq_u32_e32 vcc, 1, v5
	s_and_saveexec_b64 s[14:15], vcc
	s_cbranch_execz .LBB31_394
; %bb.396:                              ;   in Loop: Header=BB31_395 Depth=1
	v_mad_u64_u32 v[25:26], s[18:19], s8, v9, 0
	v_mul_lo_u32 v9, s9, v9
	v_mul_lo_u32 v10, s8, v10
	v_mul_hi_u32 v5, v25, 5
	v_add3_u32 v28, v26, v10, v9
	v_mad_u64_u32 v[9:10], s[18:19], v28, 5, v[5:6]
	v_mov_b32_e32 v5, v9
	v_mad_u64_u32 v[26:27], s[18:19], v25, 2, v[5:6]
	v_add_co_u32_e32 v9, vcc, v10, v27
	v_addc_co_u32_e64 v10, s[18:19], 0, 0, vcc
	v_mad_u64_u32 v[9:10], s[18:19], v28, 2, v[9:10]
	v_sub_co_u32_e32 v26, vcc, v25, v9
	v_subb_co_u32_e32 v27, vcc, v28, v10, vcc
	v_lshrrev_b64 v[26:27], 1, v[26:27]
	v_add_co_u32_e32 v5, vcc, v26, v9
	v_addc_co_u32_e32 v26, vcc, v27, v10, vcc
	v_alignbit_b32 v5, v26, v5, 30
	v_mad_u64_u32 v[9:10], s[18:19], v5, s17, 0
	v_lshrrev_b32_e32 v26, 30, v26
	v_mov_b32_e32 v5, v10
	v_mad_u64_u32 v[26:27], s[18:19], v26, s17, v[5:6]
	v_sub_co_u32_e32 v9, vcc, v25, v9
	v_subb_co_u32_e32 v10, vcc, v28, v26, vcc
	s_branch .LBB31_394
.LBB31_397:
	s_or_b64 exec, exec, s[6:7]
	v_add_u32_e32 v7, 0x80000001, v11
	v_min_u32_e32 v7, v7, v11
	v_add_u32_e32 v8, 0x80000001, v7
	v_min_u32_e32 v8, v8, v7
.LBB31_398:
	s_or_b64 exec, exec, s[4:5]
	v_mov_b32_e32 v27, 0
	s_movk_i32 s6, 0x1388
	s_mov_b32 s7, 0xbc8f1391
	s_mov_b32 s8, 0xbc8f
	s_brev_b32 s9, 12
	s_mov_b32 s14, 0xf800000
	v_mov_b32_e32 v7, 0x260
.LBB31_399:                             ; =>This Inner Loop Header: Depth=1
	v_mul_hi_u32 v9, v8, s7
	v_add_f32_e32 v10, 1.0, v27
	s_add_i32 s6, s6, -2
	s_cmp_lg_u32 s6, 0
	v_lshrrev_b32_e32 v9, 15, v9
	v_mul_u32_u24_e32 v11, 0xadc8, v9
	v_sub_u32_e32 v8, v8, v11
	v_mul_lo_u32 v8, v8, s8
	v_mul_u32_u24_e32 v9, 0xd47, v9
	v_xor_b32_e32 v11, 0x7fffffff, v9
	v_sub_u32_e32 v12, 0, v9
	v_cmp_lt_u32_e32 vcc, v8, v9
	v_cndmask_b32_e32 v9, v12, v11, vcc
	v_add_u32_e32 v8, v9, v8
	v_mul_hi_u32 v11, v8, s7
	v_add_u32_e32 v9, -1, v8
	v_cvt_f32_u32_e32 v9, v9
	v_lshrrev_b32_e32 v11, 15, v11
	v_mul_u32_u24_e32 v12, 0xadc8, v11
	v_sub_u32_e32 v8, v8, v12
	v_mul_lo_u32 v8, v8, s8
	v_mul_u32_u24_e32 v11, 0xd47, v11
	v_xor_b32_e32 v12, 0x7fffffff, v11
	v_sub_u32_e32 v28, 0, v11
	v_cmp_lt_u32_e32 vcc, v8, v11
	v_cndmask_b32_e32 v11, v28, v12, vcc
	v_add_u32_e32 v8, v11, v8
	v_mul_hi_u32 v12, v8, s7
	v_add_u32_e32 v11, -1, v8
	v_cvt_f32_u32_e32 v11, v11
	v_fma_f32 v9, v9, s9, 0
	v_lshrrev_b32_e32 v12, 15, v12
	v_mul_u32_u24_e32 v28, 0xadc8, v12
	v_fma_f32 v11, v11, s9, 0
	v_sub_u32_e32 v8, v8, v28
	v_mul_f32_e32 v11, v11, v11
	v_mul_lo_u32 v8, v8, s8
	v_fmac_f32_e32 v11, v9, v9
	v_mul_f32_e32 v9, 0x4f800000, v11
	v_cmp_gt_f32_e32 vcc, s14, v11
	v_mul_u32_u24_e32 v12, 0xd47, v12
	v_cndmask_b32_e32 v9, v11, v9, vcc
	v_xor_b32_e32 v28, 0x7fffffff, v12
	v_sub_u32_e32 v29, 0, v12
	v_sqrt_f32_e32 v11, v9
	v_cmp_lt_u32_e64 s[4:5], v8, v12
	v_cndmask_b32_e64 v12, v29, v28, s[4:5]
	v_add_u32_e32 v8, v12, v8
	v_mul_hi_u32 v28, v8, s7
	v_add_u32_e32 v29, -1, v11
	v_add_u32_e32 v30, 1, v11
	v_fma_f32 v32, -v29, v11, v9
	v_fma_f32 v33, -v30, v11, v9
	v_cmp_ge_f32_e64 s[4:5], 0, v32
	v_cndmask_b32_e64 v11, v11, v29, s[4:5]
	v_cmp_lt_f32_e64 s[4:5], 0, v33
	v_lshrrev_b32_e32 v28, 15, v28
	v_cndmask_b32_e64 v11, v11, v30, s[4:5]
	v_mul_u32_u24_e32 v30, 0xadc8, v28
	v_add_u32_e32 v12, -1, v8
	v_sub_u32_e32 v8, v8, v30
	v_mul_f32_e32 v29, 0x37800000, v11
	v_mul_lo_u32 v8, v8, s8
	v_cndmask_b32_e32 v11, v11, v29, vcc
	v_cmp_class_f32_e32 vcc, v9, v7
	v_cndmask_b32_e32 v9, v11, v9, vcc
	v_mul_u32_u24_e32 v28, 0xd47, v28
	v_cmp_nge_f32_e32 vcc, 1.0, v9
	v_xor_b32_e32 v29, 0x7fffffff, v28
	v_sub_u32_e32 v30, 0, v28
	v_cndmask_b32_e32 v9, v10, v27, vcc
	v_cmp_lt_u32_e32 vcc, v8, v28
	v_cndmask_b32_e32 v11, v30, v29, vcc
	v_add_u32_e32 v8, v11, v8
	v_add_u32_e32 v11, -1, v8
	v_cvt_f32_u32_e32 v11, v11
	v_cvt_f32_u32_e32 v12, v12
	v_add_f32_e32 v10, 1.0, v9
	v_fma_f32 v11, v11, s9, 0
	v_fma_f32 v12, v12, s9, 0
	v_mul_f32_e32 v11, v11, v11
	v_fmac_f32_e32 v11, v12, v12
	v_mul_f32_e32 v12, 0x4f800000, v11
	v_cmp_gt_f32_e32 vcc, s14, v11
	v_cndmask_b32_e32 v11, v11, v12, vcc
	v_sqrt_f32_e32 v12, v11
	v_add_u32_e32 v27, -1, v12
	v_add_u32_e32 v28, 1, v12
	v_fma_f32 v29, -v27, v12, v11
	v_fma_f32 v30, -v28, v12, v11
	v_cmp_ge_f32_e64 s[4:5], 0, v29
	v_cndmask_b32_e64 v12, v12, v27, s[4:5]
	v_cmp_lt_f32_e64 s[4:5], 0, v30
	v_cndmask_b32_e64 v12, v12, v28, s[4:5]
	v_mul_f32_e32 v27, 0x37800000, v12
	v_cndmask_b32_e32 v12, v12, v27, vcc
	v_cmp_class_f32_e32 vcc, v11, v7
	v_cndmask_b32_e32 v11, v12, v11, vcc
	v_cmp_nge_f32_e32 vcc, 1.0, v11
	v_cndmask_b32_e32 v27, v10, v9, vcc
	s_cbranch_scc1 .LBB31_399
; %bb.400:
	v_add_u32_e32 v7, 0xfde800, v6
	v_cmp_ne_u32_e32 vcc, 0, v7
	v_mov_b32_e32 v8, 1
	s_and_saveexec_b64 s[4:5], vcc
	s_cbranch_execz .LBB31_414
; %bb.401:
	v_mov_b32_e32 v8, 0
	v_mov_b32_e32 v11, 1
	;; [unrolled: 1-line block ×3, first 2 shown]
	s_mov_b64 s[8:9], 0xbc8f
	v_mov_b32_e32 v12, 0
	s_mov_b64 s[6:7], 0
	s_brev_b32 s17, -2
	v_mov_b32_e32 v9, v7
	s_branch .LBB31_403
.LBB31_402:                             ;   in Loop: Header=BB31_403 Depth=1
	s_or_b64 exec, exec, s[14:15]
	s_mul_i32 s9, s8, s9
	s_mul_hi_u32 s14, s8, s8
	s_add_i32 s14, s14, s9
	s_add_i32 s14, s14, s9
	s_mul_i32 s15, s8, s8
	s_mul_i32 s9, s14, 3
	s_mul_hi_u32 s18, s15, 3
	s_mul_hi_u32 s8, s14, 3
	s_add_u32 s9, s9, s18
	s_addc_u32 s8, s8, 0
	s_mul_i32 s19, s15, 0x80000001
	s_mul_hi_u32 s18, s15, 0x80000001
	s_add_u32 s9, s19, s9
	s_addc_u32 s9, s18, 0
	s_add_u32 s8, s8, s9
	s_addc_u32 s9, 0, 0
	s_mul_i32 s19, s14, 0x80000001
	s_mul_hi_u32 s18, s14, 0x80000001
	s_add_u32 s8, s19, s8
	s_addc_u32 s9, s18, s9
	s_lshr_b32 s18, s9, 30
	s_lshr_b64 s[8:9], s[8:9], 30
	s_mul_i32 s18, s18, 0x7fffffff
	s_mul_hi_u32 s9, s8, 0x7fffffff
	v_lshrrev_b64 v[28:29], 1, v[9:10]
	s_add_i32 s9, s9, s18
	s_mul_i32 s8, s8, 0x7fffffff
	s_sub_u32 s8, s15, s8
	v_cmp_gt_u64_e32 vcc, 2, v[9:10]
	s_subb_u32 s9, s14, s9
	v_mov_b32_e32 v9, v28
	s_or_b64 s[6:7], vcc, s[6:7]
	v_mov_b32_e32 v10, v29
	s_andn2_b64 exec, exec, s[6:7]
	s_cbranch_execz .LBB31_413
.LBB31_403:                             ; =>This Inner Loop Header: Depth=1
	v_and_b32_e32 v7, 1, v9
	v_cmp_eq_u32_e32 vcc, 1, v7
	s_and_saveexec_b64 s[14:15], vcc
	s_cbranch_execz .LBB31_402
; %bb.404:                              ;   in Loop: Header=BB31_403 Depth=1
	v_mad_u64_u32 v[28:29], s[18:19], s8, v11, 0
	v_mul_lo_u32 v11, s9, v11
	v_mul_lo_u32 v12, s8, v12
	v_mul_hi_u32 v7, v28, 5
	v_add3_u32 v32, v29, v12, v11
	v_mad_u64_u32 v[11:12], s[18:19], v32, 5, v[7:8]
	v_mov_b32_e32 v7, v11
	v_mad_u64_u32 v[29:30], s[18:19], v28, 2, v[7:8]
	v_add_co_u32_e32 v11, vcc, v12, v30
	v_addc_co_u32_e64 v12, s[18:19], 0, 0, vcc
	v_mad_u64_u32 v[11:12], s[18:19], v32, 2, v[11:12]
	v_sub_co_u32_e32 v29, vcc, v28, v11
	v_subb_co_u32_e32 v30, vcc, v32, v12, vcc
	v_lshrrev_b64 v[29:30], 1, v[29:30]
	v_add_co_u32_e32 v7, vcc, v29, v11
	v_addc_co_u32_e32 v29, vcc, v30, v12, vcc
	v_alignbit_b32 v7, v29, v7, 30
	v_mad_u64_u32 v[11:12], s[18:19], v7, s17, 0
	v_lshrrev_b32_e32 v29, 30, v29
	v_mov_b32_e32 v7, v12
	v_mad_u64_u32 v[29:30], s[18:19], v29, s17, v[7:8]
	v_sub_co_u32_e32 v11, vcc, v28, v11
	v_subb_co_u32_e32 v12, vcc, v32, v29, vcc
	s_branch .LBB31_402
.LBB31_405:
	s_or_b64 exec, exec, s[6:7]
	v_add_u32_e32 v5, 0x80000001, v9
	v_min_u32_e32 v5, v5, v9
	v_add_u32_e32 v6, 0x80000001, v5
	v_min_u32_e32 v6, v6, v5
.LBB31_406:
	s_or_b64 exec, exec, s[4:5]
	v_mov_b32_e32 v25, 0
	s_movk_i32 s6, 0x1388
	s_mov_b32 s7, 0xbc8f1391
	s_mov_b32 s8, 0xbc8f
	s_brev_b32 s9, 12
	s_mov_b32 s14, 0xf800000
	v_mov_b32_e32 v5, 0x260
.LBB31_407:                             ; =>This Inner Loop Header: Depth=1
	v_mul_hi_u32 v7, v6, s7
	v_add_f32_e32 v8, 1.0, v25
	s_add_i32 s6, s6, -2
	s_cmp_lg_u32 s6, 0
	v_lshrrev_b32_e32 v7, 15, v7
	v_mul_u32_u24_e32 v9, 0xadc8, v7
	v_sub_u32_e32 v6, v6, v9
	v_mul_lo_u32 v6, v6, s8
	v_mul_u32_u24_e32 v7, 0xd47, v7
	v_xor_b32_e32 v9, 0x7fffffff, v7
	v_sub_u32_e32 v10, 0, v7
	v_cmp_lt_u32_e32 vcc, v6, v7
	v_cndmask_b32_e32 v7, v10, v9, vcc
	v_add_u32_e32 v6, v7, v6
	v_mul_hi_u32 v9, v6, s7
	v_add_u32_e32 v7, -1, v6
	v_cvt_f32_u32_e32 v7, v7
	v_lshrrev_b32_e32 v9, 15, v9
	v_mul_u32_u24_e32 v10, 0xadc8, v9
	v_sub_u32_e32 v6, v6, v10
	v_mul_lo_u32 v6, v6, s8
	v_mul_u32_u24_e32 v9, 0xd47, v9
	v_xor_b32_e32 v10, 0x7fffffff, v9
	v_sub_u32_e32 v26, 0, v9
	v_cmp_lt_u32_e32 vcc, v6, v9
	v_cndmask_b32_e32 v9, v26, v10, vcc
	v_add_u32_e32 v6, v9, v6
	v_mul_hi_u32 v10, v6, s7
	v_add_u32_e32 v9, -1, v6
	v_cvt_f32_u32_e32 v9, v9
	v_fma_f32 v7, v7, s9, 0
	v_lshrrev_b32_e32 v10, 15, v10
	v_mul_u32_u24_e32 v26, 0xadc8, v10
	v_fma_f32 v9, v9, s9, 0
	v_sub_u32_e32 v6, v6, v26
	v_mul_f32_e32 v9, v9, v9
	v_mul_lo_u32 v6, v6, s8
	v_fmac_f32_e32 v9, v7, v7
	v_mul_f32_e32 v7, 0x4f800000, v9
	v_cmp_gt_f32_e32 vcc, s14, v9
	v_mul_u32_u24_e32 v10, 0xd47, v10
	v_cndmask_b32_e32 v7, v9, v7, vcc
	v_xor_b32_e32 v26, 0x7fffffff, v10
	v_sub_u32_e32 v27, 0, v10
	v_sqrt_f32_e32 v9, v7
	v_cmp_lt_u32_e64 s[4:5], v6, v10
	v_cndmask_b32_e64 v10, v27, v26, s[4:5]
	v_add_u32_e32 v6, v10, v6
	v_mul_hi_u32 v26, v6, s7
	v_add_u32_e32 v27, -1, v9
	v_add_u32_e32 v28, 1, v9
	v_fma_f32 v29, -v27, v9, v7
	v_fma_f32 v30, -v28, v9, v7
	v_cmp_ge_f32_e64 s[4:5], 0, v29
	v_cndmask_b32_e64 v9, v9, v27, s[4:5]
	v_cmp_lt_f32_e64 s[4:5], 0, v30
	v_lshrrev_b32_e32 v26, 15, v26
	v_cndmask_b32_e64 v9, v9, v28, s[4:5]
	v_mul_u32_u24_e32 v28, 0xadc8, v26
	v_add_u32_e32 v10, -1, v6
	v_sub_u32_e32 v6, v6, v28
	v_mul_f32_e32 v27, 0x37800000, v9
	v_mul_lo_u32 v6, v6, s8
	v_cndmask_b32_e32 v9, v9, v27, vcc
	v_cmp_class_f32_e32 vcc, v7, v5
	v_cndmask_b32_e32 v7, v9, v7, vcc
	v_mul_u32_u24_e32 v26, 0xd47, v26
	v_cmp_nge_f32_e32 vcc, 1.0, v7
	v_xor_b32_e32 v27, 0x7fffffff, v26
	v_sub_u32_e32 v28, 0, v26
	v_cndmask_b32_e32 v7, v8, v25, vcc
	v_cmp_lt_u32_e32 vcc, v6, v26
	v_cndmask_b32_e32 v9, v28, v27, vcc
	v_add_u32_e32 v6, v9, v6
	v_add_u32_e32 v9, -1, v6
	v_cvt_f32_u32_e32 v9, v9
	v_cvt_f32_u32_e32 v10, v10
	v_add_f32_e32 v8, 1.0, v7
	v_fma_f32 v9, v9, s9, 0
	v_fma_f32 v10, v10, s9, 0
	v_mul_f32_e32 v9, v9, v9
	v_fmac_f32_e32 v9, v10, v10
	v_mul_f32_e32 v10, 0x4f800000, v9
	v_cmp_gt_f32_e32 vcc, s14, v9
	v_cndmask_b32_e32 v9, v9, v10, vcc
	v_sqrt_f32_e32 v10, v9
	v_add_u32_e32 v25, -1, v10
	v_add_u32_e32 v26, 1, v10
	v_fma_f32 v27, -v25, v10, v9
	v_fma_f32 v28, -v26, v10, v9
	v_cmp_ge_f32_e64 s[4:5], 0, v27
	v_cndmask_b32_e64 v10, v10, v25, s[4:5]
	v_cmp_lt_f32_e64 s[4:5], 0, v28
	v_cndmask_b32_e64 v10, v10, v26, s[4:5]
	v_mul_f32_e32 v25, 0x37800000, v10
	v_cndmask_b32_e32 v10, v10, v25, vcc
	v_cmp_class_f32_e32 vcc, v9, v5
	v_cndmask_b32_e32 v9, v10, v9, vcc
	v_cmp_nge_f32_e32 vcc, 1.0, v9
	v_cndmask_b32_e32 v25, v8, v7, vcc
	s_cbranch_scc1 .LBB31_407
; %bb.408:
	v_add_u32_e32 v5, 0xfde800, v4
	v_cmp_ne_u32_e32 vcc, 0, v5
	v_mov_b32_e32 v6, 1
	s_and_saveexec_b64 s[4:5], vcc
	s_cbranch_execz .LBB31_422
; %bb.409:
	v_mov_b32_e32 v6, 0
	v_mov_b32_e32 v9, 1
	v_mov_b32_e32 v8, v6
	s_mov_b64 s[8:9], 0xbc8f
	v_mov_b32_e32 v10, 0
	s_mov_b64 s[6:7], 0
	s_brev_b32 s17, -2
	v_mov_b32_e32 v7, v5
	s_branch .LBB31_411
.LBB31_410:                             ;   in Loop: Header=BB31_411 Depth=1
	s_or_b64 exec, exec, s[14:15]
	s_mul_i32 s9, s8, s9
	s_mul_hi_u32 s14, s8, s8
	s_add_i32 s14, s14, s9
	s_add_i32 s14, s14, s9
	s_mul_i32 s15, s8, s8
	s_mul_i32 s9, s14, 3
	s_mul_hi_u32 s18, s15, 3
	s_mul_hi_u32 s8, s14, 3
	s_add_u32 s9, s9, s18
	s_addc_u32 s8, s8, 0
	s_mul_i32 s19, s15, 0x80000001
	s_mul_hi_u32 s18, s15, 0x80000001
	s_add_u32 s9, s19, s9
	s_addc_u32 s9, s18, 0
	s_add_u32 s8, s8, s9
	s_addc_u32 s9, 0, 0
	s_mul_i32 s19, s14, 0x80000001
	s_mul_hi_u32 s18, s14, 0x80000001
	s_add_u32 s8, s19, s8
	s_addc_u32 s9, s18, s9
	s_lshr_b32 s18, s9, 30
	s_lshr_b64 s[8:9], s[8:9], 30
	s_mul_i32 s18, s18, 0x7fffffff
	s_mul_hi_u32 s9, s8, 0x7fffffff
	v_lshrrev_b64 v[26:27], 1, v[7:8]
	s_add_i32 s9, s9, s18
	s_mul_i32 s8, s8, 0x7fffffff
	s_sub_u32 s8, s15, s8
	v_cmp_gt_u64_e32 vcc, 2, v[7:8]
	s_subb_u32 s9, s14, s9
	v_mov_b32_e32 v7, v26
	s_or_b64 s[6:7], vcc, s[6:7]
	v_mov_b32_e32 v8, v27
	s_andn2_b64 exec, exec, s[6:7]
	s_cbranch_execz .LBB31_421
.LBB31_411:                             ; =>This Inner Loop Header: Depth=1
	v_and_b32_e32 v5, 1, v7
	v_cmp_eq_u32_e32 vcc, 1, v5
	s_and_saveexec_b64 s[14:15], vcc
	s_cbranch_execz .LBB31_410
; %bb.412:                              ;   in Loop: Header=BB31_411 Depth=1
	v_mad_u64_u32 v[26:27], s[18:19], s8, v9, 0
	v_mul_lo_u32 v9, s9, v9
	v_mul_lo_u32 v10, s8, v10
	v_mul_hi_u32 v5, v26, 5
	v_add3_u32 v29, v27, v10, v9
	v_mad_u64_u32 v[9:10], s[18:19], v29, 5, v[5:6]
	v_mov_b32_e32 v5, v9
	v_mad_u64_u32 v[27:28], s[18:19], v26, 2, v[5:6]
	v_add_co_u32_e32 v9, vcc, v10, v28
	v_addc_co_u32_e64 v10, s[18:19], 0, 0, vcc
	v_mad_u64_u32 v[9:10], s[18:19], v29, 2, v[9:10]
	v_sub_co_u32_e32 v27, vcc, v26, v9
	v_subb_co_u32_e32 v28, vcc, v29, v10, vcc
	v_lshrrev_b64 v[27:28], 1, v[27:28]
	v_add_co_u32_e32 v5, vcc, v27, v9
	v_addc_co_u32_e32 v27, vcc, v28, v10, vcc
	v_alignbit_b32 v5, v27, v5, 30
	v_mad_u64_u32 v[9:10], s[18:19], v5, s17, 0
	v_lshrrev_b32_e32 v27, 30, v27
	v_mov_b32_e32 v5, v10
	v_mad_u64_u32 v[27:28], s[18:19], v27, s17, v[5:6]
	v_sub_co_u32_e32 v9, vcc, v26, v9
	v_subb_co_u32_e32 v10, vcc, v29, v27, vcc
	s_branch .LBB31_410
.LBB31_413:
	s_or_b64 exec, exec, s[6:7]
	v_add_u32_e32 v7, 0x80000001, v11
	v_min_u32_e32 v7, v7, v11
	v_add_u32_e32 v8, 0x80000001, v7
	v_min_u32_e32 v8, v8, v7
.LBB31_414:
	s_or_b64 exec, exec, s[4:5]
	v_mov_b32_e32 v28, 0
	s_movk_i32 s6, 0x1388
	s_mov_b32 s7, 0xbc8f1391
	s_mov_b32 s8, 0xbc8f
	s_brev_b32 s9, 12
	s_mov_b32 s14, 0xf800000
	v_mov_b32_e32 v7, 0x260
.LBB31_415:                             ; =>This Inner Loop Header: Depth=1
	v_mul_hi_u32 v9, v8, s7
	v_add_f32_e32 v10, 1.0, v28
	s_add_i32 s6, s6, -2
	s_cmp_lg_u32 s6, 0
	v_lshrrev_b32_e32 v9, 15, v9
	v_mul_u32_u24_e32 v11, 0xadc8, v9
	v_sub_u32_e32 v8, v8, v11
	v_mul_lo_u32 v8, v8, s8
	v_mul_u32_u24_e32 v9, 0xd47, v9
	v_xor_b32_e32 v11, 0x7fffffff, v9
	v_sub_u32_e32 v12, 0, v9
	v_cmp_lt_u32_e32 vcc, v8, v9
	v_cndmask_b32_e32 v9, v12, v11, vcc
	v_add_u32_e32 v8, v9, v8
	v_mul_hi_u32 v11, v8, s7
	v_add_u32_e32 v9, -1, v8
	v_cvt_f32_u32_e32 v9, v9
	v_lshrrev_b32_e32 v11, 15, v11
	v_mul_u32_u24_e32 v12, 0xadc8, v11
	v_sub_u32_e32 v8, v8, v12
	v_mul_lo_u32 v8, v8, s8
	v_mul_u32_u24_e32 v11, 0xd47, v11
	v_xor_b32_e32 v12, 0x7fffffff, v11
	v_sub_u32_e32 v29, 0, v11
	v_cmp_lt_u32_e32 vcc, v8, v11
	v_cndmask_b32_e32 v11, v29, v12, vcc
	v_add_u32_e32 v8, v11, v8
	v_mul_hi_u32 v12, v8, s7
	v_add_u32_e32 v11, -1, v8
	v_cvt_f32_u32_e32 v11, v11
	v_fma_f32 v9, v9, s9, 0
	v_lshrrev_b32_e32 v12, 15, v12
	v_mul_u32_u24_e32 v29, 0xadc8, v12
	v_fma_f32 v11, v11, s9, 0
	v_sub_u32_e32 v8, v8, v29
	v_mul_f32_e32 v11, v11, v11
	v_mul_lo_u32 v8, v8, s8
	v_fmac_f32_e32 v11, v9, v9
	v_mul_f32_e32 v9, 0x4f800000, v11
	v_cmp_gt_f32_e32 vcc, s14, v11
	v_mul_u32_u24_e32 v12, 0xd47, v12
	v_cndmask_b32_e32 v9, v11, v9, vcc
	v_xor_b32_e32 v29, 0x7fffffff, v12
	v_sub_u32_e32 v30, 0, v12
	v_sqrt_f32_e32 v11, v9
	v_cmp_lt_u32_e64 s[4:5], v8, v12
	v_cndmask_b32_e64 v12, v30, v29, s[4:5]
	v_add_u32_e32 v8, v12, v8
	v_mul_hi_u32 v29, v8, s7
	v_add_u32_e32 v30, -1, v11
	v_add_u32_e32 v32, 1, v11
	v_fma_f32 v33, -v30, v11, v9
	v_fma_f32 v34, -v32, v11, v9
	v_cmp_ge_f32_e64 s[4:5], 0, v33
	v_cndmask_b32_e64 v11, v11, v30, s[4:5]
	v_cmp_lt_f32_e64 s[4:5], 0, v34
	v_lshrrev_b32_e32 v29, 15, v29
	v_cndmask_b32_e64 v11, v11, v32, s[4:5]
	v_mul_u32_u24_e32 v32, 0xadc8, v29
	v_add_u32_e32 v12, -1, v8
	v_sub_u32_e32 v8, v8, v32
	v_mul_f32_e32 v30, 0x37800000, v11
	v_mul_lo_u32 v8, v8, s8
	v_cndmask_b32_e32 v11, v11, v30, vcc
	v_cmp_class_f32_e32 vcc, v9, v7
	v_cndmask_b32_e32 v9, v11, v9, vcc
	v_mul_u32_u24_e32 v29, 0xd47, v29
	v_cmp_nge_f32_e32 vcc, 1.0, v9
	v_xor_b32_e32 v30, 0x7fffffff, v29
	v_sub_u32_e32 v32, 0, v29
	v_cndmask_b32_e32 v9, v10, v28, vcc
	v_cmp_lt_u32_e32 vcc, v8, v29
	v_cndmask_b32_e32 v11, v32, v30, vcc
	v_add_u32_e32 v8, v11, v8
	v_add_u32_e32 v11, -1, v8
	v_cvt_f32_u32_e32 v11, v11
	v_cvt_f32_u32_e32 v12, v12
	v_add_f32_e32 v10, 1.0, v9
	v_fma_f32 v11, v11, s9, 0
	v_fma_f32 v12, v12, s9, 0
	v_mul_f32_e32 v11, v11, v11
	v_fmac_f32_e32 v11, v12, v12
	v_mul_f32_e32 v12, 0x4f800000, v11
	v_cmp_gt_f32_e32 vcc, s14, v11
	v_cndmask_b32_e32 v11, v11, v12, vcc
	v_sqrt_f32_e32 v12, v11
	v_add_u32_e32 v28, -1, v12
	v_add_u32_e32 v29, 1, v12
	v_fma_f32 v30, -v28, v12, v11
	v_fma_f32 v32, -v29, v12, v11
	v_cmp_ge_f32_e64 s[4:5], 0, v30
	v_cndmask_b32_e64 v12, v12, v28, s[4:5]
	v_cmp_lt_f32_e64 s[4:5], 0, v32
	v_cndmask_b32_e64 v12, v12, v29, s[4:5]
	v_mul_f32_e32 v28, 0x37800000, v12
	v_cndmask_b32_e32 v12, v12, v28, vcc
	v_cmp_class_f32_e32 vcc, v11, v7
	v_cndmask_b32_e32 v11, v12, v11, vcc
	v_cmp_nge_f32_e32 vcc, 1.0, v11
	v_cndmask_b32_e32 v28, v10, v9, vcc
	s_cbranch_scc1 .LBB31_415
; %bb.416:
	v_add_u32_e32 v7, 0x1117000, v6
	v_cmp_ne_u32_e32 vcc, 0, v7
	v_mov_b32_e32 v8, 1
	s_and_saveexec_b64 s[4:5], vcc
	s_cbranch_execz .LBB31_430
; %bb.417:
	v_mov_b32_e32 v8, 0
	v_mov_b32_e32 v11, 1
	;; [unrolled: 1-line block ×3, first 2 shown]
	s_mov_b64 s[8:9], 0xbc8f
	v_mov_b32_e32 v12, 0
	s_mov_b64 s[6:7], 0
	s_brev_b32 s17, -2
	v_mov_b32_e32 v9, v7
	s_branch .LBB31_419
.LBB31_418:                             ;   in Loop: Header=BB31_419 Depth=1
	s_or_b64 exec, exec, s[14:15]
	s_mul_i32 s9, s8, s9
	s_mul_hi_u32 s14, s8, s8
	s_add_i32 s14, s14, s9
	s_add_i32 s14, s14, s9
	s_mul_i32 s15, s8, s8
	s_mul_i32 s9, s14, 3
	s_mul_hi_u32 s18, s15, 3
	s_mul_hi_u32 s8, s14, 3
	s_add_u32 s9, s9, s18
	s_addc_u32 s8, s8, 0
	s_mul_i32 s19, s15, 0x80000001
	s_mul_hi_u32 s18, s15, 0x80000001
	s_add_u32 s9, s19, s9
	s_addc_u32 s9, s18, 0
	s_add_u32 s8, s8, s9
	s_addc_u32 s9, 0, 0
	s_mul_i32 s19, s14, 0x80000001
	s_mul_hi_u32 s18, s14, 0x80000001
	s_add_u32 s8, s19, s8
	s_addc_u32 s9, s18, s9
	s_lshr_b32 s18, s9, 30
	s_lshr_b64 s[8:9], s[8:9], 30
	s_mul_i32 s18, s18, 0x7fffffff
	s_mul_hi_u32 s9, s8, 0x7fffffff
	v_lshrrev_b64 v[29:30], 1, v[9:10]
	s_add_i32 s9, s9, s18
	s_mul_i32 s8, s8, 0x7fffffff
	s_sub_u32 s8, s15, s8
	v_cmp_gt_u64_e32 vcc, 2, v[9:10]
	s_subb_u32 s9, s14, s9
	v_mov_b32_e32 v9, v29
	s_or_b64 s[6:7], vcc, s[6:7]
	v_mov_b32_e32 v10, v30
	s_andn2_b64 exec, exec, s[6:7]
	s_cbranch_execz .LBB31_429
.LBB31_419:                             ; =>This Inner Loop Header: Depth=1
	v_and_b32_e32 v7, 1, v9
	v_cmp_eq_u32_e32 vcc, 1, v7
	s_and_saveexec_b64 s[14:15], vcc
	s_cbranch_execz .LBB31_418
; %bb.420:                              ;   in Loop: Header=BB31_419 Depth=1
	v_mad_u64_u32 v[29:30], s[18:19], s8, v11, 0
	v_mul_lo_u32 v11, s9, v11
	v_mul_lo_u32 v12, s8, v12
	v_mul_hi_u32 v7, v29, 5
	v_add3_u32 v30, v30, v12, v11
	v_mad_u64_u32 v[11:12], s[18:19], v30, 5, v[7:8]
	v_mov_b32_e32 v7, v11
	v_mad_u64_u32 v[32:33], s[18:19], v29, 2, v[7:8]
	v_add_co_u32_e32 v11, vcc, v12, v33
	v_addc_co_u32_e64 v12, s[18:19], 0, 0, vcc
	v_mad_u64_u32 v[11:12], s[18:19], v30, 2, v[11:12]
	v_sub_co_u32_e32 v32, vcc, v29, v11
	v_subb_co_u32_e32 v33, vcc, v30, v12, vcc
	v_lshrrev_b64 v[32:33], 1, v[32:33]
	v_add_co_u32_e32 v7, vcc, v32, v11
	v_addc_co_u32_e32 v32, vcc, v33, v12, vcc
	v_alignbit_b32 v7, v32, v7, 30
	v_mad_u64_u32 v[11:12], s[18:19], v7, s17, 0
	v_lshrrev_b32_e32 v32, 30, v32
	v_mov_b32_e32 v7, v12
	v_mad_u64_u32 v[32:33], s[18:19], v32, s17, v[7:8]
	v_sub_co_u32_e32 v11, vcc, v29, v11
	v_subb_co_u32_e32 v12, vcc, v30, v32, vcc
	s_branch .LBB31_418
.LBB31_421:
	s_or_b64 exec, exec, s[6:7]
	v_add_u32_e32 v5, 0x80000001, v9
	v_min_u32_e32 v5, v5, v9
	v_add_u32_e32 v6, 0x80000001, v5
	v_min_u32_e32 v6, v6, v5
.LBB31_422:
	s_or_b64 exec, exec, s[4:5]
	v_mov_b32_e32 v26, 0
	s_movk_i32 s6, 0x1388
	s_mov_b32 s7, 0xbc8f1391
	s_mov_b32 s8, 0xbc8f
	s_brev_b32 s9, 12
	s_mov_b32 s14, 0xf800000
	v_mov_b32_e32 v5, 0x260
.LBB31_423:                             ; =>This Inner Loop Header: Depth=1
	v_mul_hi_u32 v7, v6, s7
	v_add_f32_e32 v8, 1.0, v26
	s_add_i32 s6, s6, -2
	s_cmp_lg_u32 s6, 0
	v_lshrrev_b32_e32 v7, 15, v7
	v_mul_u32_u24_e32 v9, 0xadc8, v7
	v_sub_u32_e32 v6, v6, v9
	v_mul_lo_u32 v6, v6, s8
	v_mul_u32_u24_e32 v7, 0xd47, v7
	v_xor_b32_e32 v9, 0x7fffffff, v7
	v_sub_u32_e32 v10, 0, v7
	v_cmp_lt_u32_e32 vcc, v6, v7
	v_cndmask_b32_e32 v7, v10, v9, vcc
	v_add_u32_e32 v6, v7, v6
	v_mul_hi_u32 v9, v6, s7
	v_add_u32_e32 v7, -1, v6
	v_cvt_f32_u32_e32 v7, v7
	v_lshrrev_b32_e32 v9, 15, v9
	v_mul_u32_u24_e32 v10, 0xadc8, v9
	v_sub_u32_e32 v6, v6, v10
	v_mul_lo_u32 v6, v6, s8
	v_mul_u32_u24_e32 v9, 0xd47, v9
	v_xor_b32_e32 v10, 0x7fffffff, v9
	v_sub_u32_e32 v27, 0, v9
	v_cmp_lt_u32_e32 vcc, v6, v9
	v_cndmask_b32_e32 v9, v27, v10, vcc
	v_add_u32_e32 v6, v9, v6
	v_mul_hi_u32 v10, v6, s7
	v_add_u32_e32 v9, -1, v6
	v_cvt_f32_u32_e32 v9, v9
	v_fma_f32 v7, v7, s9, 0
	v_lshrrev_b32_e32 v10, 15, v10
	v_mul_u32_u24_e32 v27, 0xadc8, v10
	v_fma_f32 v9, v9, s9, 0
	v_sub_u32_e32 v6, v6, v27
	v_mul_f32_e32 v9, v9, v9
	v_mul_lo_u32 v6, v6, s8
	v_fmac_f32_e32 v9, v7, v7
	v_mul_f32_e32 v7, 0x4f800000, v9
	v_cmp_gt_f32_e32 vcc, s14, v9
	v_mul_u32_u24_e32 v10, 0xd47, v10
	v_cndmask_b32_e32 v7, v9, v7, vcc
	v_xor_b32_e32 v27, 0x7fffffff, v10
	v_sub_u32_e32 v28, 0, v10
	v_sqrt_f32_e32 v9, v7
	v_cmp_lt_u32_e64 s[4:5], v6, v10
	v_cndmask_b32_e64 v10, v28, v27, s[4:5]
	v_add_u32_e32 v6, v10, v6
	v_mul_hi_u32 v27, v6, s7
	v_add_u32_e32 v28, -1, v9
	v_add_u32_e32 v29, 1, v9
	v_fma_f32 v30, -v28, v9, v7
	v_fma_f32 v31, -v29, v9, v7
	v_cmp_ge_f32_e64 s[4:5], 0, v30
	v_cndmask_b32_e64 v9, v9, v28, s[4:5]
	v_cmp_lt_f32_e64 s[4:5], 0, v31
	v_lshrrev_b32_e32 v27, 15, v27
	v_cndmask_b32_e64 v9, v9, v29, s[4:5]
	v_mul_u32_u24_e32 v29, 0xadc8, v27
	v_add_u32_e32 v10, -1, v6
	v_sub_u32_e32 v6, v6, v29
	v_mul_f32_e32 v28, 0x37800000, v9
	v_mul_lo_u32 v6, v6, s8
	v_cndmask_b32_e32 v9, v9, v28, vcc
	v_cmp_class_f32_e32 vcc, v7, v5
	v_cndmask_b32_e32 v7, v9, v7, vcc
	v_mul_u32_u24_e32 v27, 0xd47, v27
	v_cmp_nge_f32_e32 vcc, 1.0, v7
	v_xor_b32_e32 v28, 0x7fffffff, v27
	v_sub_u32_e32 v29, 0, v27
	v_cndmask_b32_e32 v7, v8, v26, vcc
	v_cmp_lt_u32_e32 vcc, v6, v27
	v_cndmask_b32_e32 v9, v29, v28, vcc
	v_add_u32_e32 v6, v9, v6
	v_add_u32_e32 v9, -1, v6
	v_cvt_f32_u32_e32 v9, v9
	v_cvt_f32_u32_e32 v10, v10
	v_add_f32_e32 v8, 1.0, v7
	v_fma_f32 v9, v9, s9, 0
	v_fma_f32 v10, v10, s9, 0
	v_mul_f32_e32 v9, v9, v9
	v_fmac_f32_e32 v9, v10, v10
	v_mul_f32_e32 v10, 0x4f800000, v9
	v_cmp_gt_f32_e32 vcc, s14, v9
	v_cndmask_b32_e32 v9, v9, v10, vcc
	v_sqrt_f32_e32 v10, v9
	v_add_u32_e32 v26, -1, v10
	v_add_u32_e32 v27, 1, v10
	v_fma_f32 v28, -v26, v10, v9
	v_fma_f32 v29, -v27, v10, v9
	v_cmp_ge_f32_e64 s[4:5], 0, v28
	v_cndmask_b32_e64 v10, v10, v26, s[4:5]
	v_cmp_lt_f32_e64 s[4:5], 0, v29
	v_cndmask_b32_e64 v10, v10, v27, s[4:5]
	v_mul_f32_e32 v26, 0x37800000, v10
	v_cndmask_b32_e32 v10, v10, v26, vcc
	v_cmp_class_f32_e32 vcc, v9, v5
	v_cndmask_b32_e32 v9, v10, v9, vcc
	v_cmp_nge_f32_e32 vcc, 1.0, v9
	v_cndmask_b32_e32 v26, v8, v7, vcc
	s_cbranch_scc1 .LBB31_423
; %bb.424:
	v_add_u32_e32 v5, 0x1117000, v4
	v_cmp_ne_u32_e32 vcc, 0, v5
	v_mov_b32_e32 v6, 1
	s_and_saveexec_b64 s[4:5], vcc
	s_cbranch_execz .LBB31_438
; %bb.425:
	v_mov_b32_e32 v6, 0
	v_mov_b32_e32 v9, 1
	;; [unrolled: 1-line block ×3, first 2 shown]
	s_mov_b64 s[8:9], 0xbc8f
	v_mov_b32_e32 v10, 0
	s_mov_b64 s[6:7], 0
	s_brev_b32 s17, -2
	v_mov_b32_e32 v7, v5
	s_branch .LBB31_427
.LBB31_426:                             ;   in Loop: Header=BB31_427 Depth=1
	s_or_b64 exec, exec, s[14:15]
	s_mul_i32 s9, s8, s9
	s_mul_hi_u32 s14, s8, s8
	s_add_i32 s14, s14, s9
	s_add_i32 s14, s14, s9
	s_mul_i32 s15, s8, s8
	s_mul_i32 s9, s14, 3
	s_mul_hi_u32 s18, s15, 3
	s_mul_hi_u32 s8, s14, 3
	s_add_u32 s9, s9, s18
	s_addc_u32 s8, s8, 0
	s_mul_i32 s19, s15, 0x80000001
	s_mul_hi_u32 s18, s15, 0x80000001
	s_add_u32 s9, s19, s9
	s_addc_u32 s9, s18, 0
	s_add_u32 s8, s8, s9
	s_addc_u32 s9, 0, 0
	s_mul_i32 s19, s14, 0x80000001
	s_mul_hi_u32 s18, s14, 0x80000001
	s_add_u32 s8, s19, s8
	s_addc_u32 s9, s18, s9
	s_lshr_b32 s18, s9, 30
	s_lshr_b64 s[8:9], s[8:9], 30
	s_mul_i32 s18, s18, 0x7fffffff
	s_mul_hi_u32 s9, s8, 0x7fffffff
	v_lshrrev_b64 v[27:28], 1, v[7:8]
	s_add_i32 s9, s9, s18
	s_mul_i32 s8, s8, 0x7fffffff
	s_sub_u32 s8, s15, s8
	v_cmp_gt_u64_e32 vcc, 2, v[7:8]
	s_subb_u32 s9, s14, s9
	v_mov_b32_e32 v7, v27
	s_or_b64 s[6:7], vcc, s[6:7]
	v_mov_b32_e32 v8, v28
	s_andn2_b64 exec, exec, s[6:7]
	s_cbranch_execz .LBB31_437
.LBB31_427:                             ; =>This Inner Loop Header: Depth=1
	v_and_b32_e32 v5, 1, v7
	v_cmp_eq_u32_e32 vcc, 1, v5
	s_and_saveexec_b64 s[14:15], vcc
	s_cbranch_execz .LBB31_426
; %bb.428:                              ;   in Loop: Header=BB31_427 Depth=1
	v_mad_u64_u32 v[27:28], s[18:19], s8, v9, 0
	v_mul_lo_u32 v9, s9, v9
	v_mul_lo_u32 v10, s8, v10
	v_mul_hi_u32 v5, v27, 5
	v_add3_u32 v30, v28, v10, v9
	v_mad_u64_u32 v[9:10], s[18:19], v30, 5, v[5:6]
	v_mov_b32_e32 v5, v9
	v_mad_u64_u32 v[28:29], s[18:19], v27, 2, v[5:6]
	v_add_co_u32_e32 v9, vcc, v10, v29
	v_addc_co_u32_e64 v10, s[18:19], 0, 0, vcc
	v_mad_u64_u32 v[9:10], s[18:19], v30, 2, v[9:10]
	v_sub_co_u32_e32 v28, vcc, v27, v9
	v_subb_co_u32_e32 v29, vcc, v30, v10, vcc
	v_lshrrev_b64 v[28:29], 1, v[28:29]
	v_add_co_u32_e32 v5, vcc, v28, v9
	v_addc_co_u32_e32 v28, vcc, v29, v10, vcc
	v_alignbit_b32 v5, v28, v5, 30
	v_mad_u64_u32 v[9:10], s[18:19], v5, s17, 0
	v_lshrrev_b32_e32 v28, 30, v28
	v_mov_b32_e32 v5, v10
	v_mad_u64_u32 v[28:29], s[18:19], v28, s17, v[5:6]
	v_sub_co_u32_e32 v9, vcc, v27, v9
	v_subb_co_u32_e32 v10, vcc, v30, v28, vcc
	s_branch .LBB31_426
.LBB31_429:
	s_or_b64 exec, exec, s[6:7]
	v_add_u32_e32 v7, 0x80000001, v11
	v_min_u32_e32 v7, v7, v11
	v_add_u32_e32 v8, 0x80000001, v7
	v_min_u32_e32 v8, v8, v7
.LBB31_430:
	s_or_b64 exec, exec, s[4:5]
	v_mov_b32_e32 v12, 0
	s_movk_i32 s6, 0x1388
	s_mov_b32 s7, 0xbc8f1391
	s_mov_b32 s8, 0xbc8f
	s_brev_b32 s9, 12
	s_mov_b32 s14, 0xf800000
	v_mov_b32_e32 v7, 0x260
.LBB31_431:                             ; =>This Inner Loop Header: Depth=1
	v_mul_hi_u32 v9, v8, s7
	v_add_f32_e32 v10, 1.0, v12
	s_add_i32 s6, s6, -2
	s_cmp_lg_u32 s6, 0
	v_lshrrev_b32_e32 v9, 15, v9
	v_mul_u32_u24_e32 v11, 0xadc8, v9
	v_sub_u32_e32 v8, v8, v11
	v_mul_lo_u32 v8, v8, s8
	v_mul_u32_u24_e32 v9, 0xd47, v9
	v_xor_b32_e32 v11, 0x7fffffff, v9
	v_sub_u32_e32 v29, 0, v9
	v_cmp_lt_u32_e32 vcc, v8, v9
	v_cndmask_b32_e32 v9, v29, v11, vcc
	v_add_u32_e32 v8, v9, v8
	v_mul_hi_u32 v11, v8, s7
	v_add_u32_e32 v9, -1, v8
	v_cvt_f32_u32_e32 v9, v9
	v_lshrrev_b32_e32 v11, 15, v11
	v_mul_u32_u24_e32 v29, 0xadc8, v11
	v_sub_u32_e32 v8, v8, v29
	v_mul_lo_u32 v8, v8, s8
	v_mul_u32_u24_e32 v11, 0xd47, v11
	v_xor_b32_e32 v29, 0x7fffffff, v11
	v_sub_u32_e32 v30, 0, v11
	v_cmp_lt_u32_e32 vcc, v8, v11
	v_cndmask_b32_e32 v11, v30, v29, vcc
	v_add_u32_e32 v8, v11, v8
	v_mul_hi_u32 v29, v8, s7
	v_add_u32_e32 v11, -1, v8
	v_cvt_f32_u32_e32 v11, v11
	v_fma_f32 v9, v9, s9, 0
	v_lshrrev_b32_e32 v29, 15, v29
	v_mul_u32_u24_e32 v30, 0xadc8, v29
	v_fma_f32 v11, v11, s9, 0
	v_sub_u32_e32 v8, v8, v30
	v_mul_f32_e32 v11, v11, v11
	v_mul_lo_u32 v8, v8, s8
	v_fmac_f32_e32 v11, v9, v9
	v_mul_f32_e32 v9, 0x4f800000, v11
	v_cmp_gt_f32_e32 vcc, s14, v11
	v_mul_u32_u24_e32 v29, 0xd47, v29
	v_cndmask_b32_e32 v9, v11, v9, vcc
	v_xor_b32_e32 v30, 0x7fffffff, v29
	v_sub_u32_e32 v32, 0, v29
	v_sqrt_f32_e32 v11, v9
	v_cmp_lt_u32_e64 s[4:5], v8, v29
	v_cndmask_b32_e64 v29, v32, v30, s[4:5]
	v_add_u32_e32 v8, v29, v8
	v_mul_hi_u32 v30, v8, s7
	v_add_u32_e32 v32, -1, v11
	v_add_u32_e32 v33, 1, v11
	v_fma_f32 v34, -v32, v11, v9
	v_fma_f32 v35, -v33, v11, v9
	v_cmp_ge_f32_e64 s[4:5], 0, v34
	v_cndmask_b32_e64 v11, v11, v32, s[4:5]
	v_cmp_lt_f32_e64 s[4:5], 0, v35
	v_lshrrev_b32_e32 v30, 15, v30
	v_cndmask_b32_e64 v11, v11, v33, s[4:5]
	v_mul_u32_u24_e32 v33, 0xadc8, v30
	v_add_u32_e32 v29, -1, v8
	v_sub_u32_e32 v8, v8, v33
	v_mul_f32_e32 v32, 0x37800000, v11
	v_mul_lo_u32 v8, v8, s8
	v_cndmask_b32_e32 v11, v11, v32, vcc
	v_cmp_class_f32_e32 vcc, v9, v7
	v_cndmask_b32_e32 v9, v11, v9, vcc
	v_mul_u32_u24_e32 v30, 0xd47, v30
	v_cmp_nge_f32_e32 vcc, 1.0, v9
	v_xor_b32_e32 v32, 0x7fffffff, v30
	v_sub_u32_e32 v33, 0, v30
	v_cndmask_b32_e32 v9, v10, v12, vcc
	v_cmp_lt_u32_e32 vcc, v8, v30
	v_cndmask_b32_e32 v11, v33, v32, vcc
	v_add_u32_e32 v8, v11, v8
	v_add_u32_e32 v11, -1, v8
	v_cvt_f32_u32_e32 v11, v11
	v_cvt_f32_u32_e32 v29, v29
	v_add_f32_e32 v10, 1.0, v9
	v_fma_f32 v11, v11, s9, 0
	v_fma_f32 v29, v29, s9, 0
	v_mul_f32_e32 v11, v11, v11
	v_fmac_f32_e32 v11, v29, v29
	v_mul_f32_e32 v12, 0x4f800000, v11
	v_cmp_gt_f32_e32 vcc, s14, v11
	v_cndmask_b32_e32 v11, v11, v12, vcc
	v_sqrt_f32_e32 v12, v11
	v_add_u32_e32 v29, -1, v12
	v_add_u32_e32 v30, 1, v12
	v_fma_f32 v32, -v29, v12, v11
	v_fma_f32 v33, -v30, v12, v11
	v_cmp_ge_f32_e64 s[4:5], 0, v32
	v_cndmask_b32_e64 v12, v12, v29, s[4:5]
	v_cmp_lt_f32_e64 s[4:5], 0, v33
	v_cndmask_b32_e64 v12, v12, v30, s[4:5]
	v_mul_f32_e32 v29, 0x37800000, v12
	v_cndmask_b32_e32 v12, v12, v29, vcc
	v_cmp_class_f32_e32 vcc, v11, v7
	v_cndmask_b32_e32 v11, v12, v11, vcc
	v_cmp_nge_f32_e32 vcc, 1.0, v11
	v_cndmask_b32_e32 v12, v10, v9, vcc
	s_cbranch_scc1 .LBB31_431
; %bb.432:
	v_add_u32_e32 v6, 0x124f800, v6
	v_cmp_ne_u32_e32 vcc, 0, v6
	v_mov_b32_e32 v8, 1
	s_and_saveexec_b64 s[4:5], vcc
	s_cbranch_execz .LBB31_446
; %bb.433:
	v_mov_b32_e32 v7, 0
	v_mov_b32_e32 v10, 1
	;; [unrolled: 1-line block ×3, first 2 shown]
	s_mov_b64 s[8:9], 0xbc8f
	v_mov_b32_e32 v11, 0
	s_mov_b64 s[6:7], 0
	s_brev_b32 s17, -2
	v_mov_b32_e32 v8, v6
	s_branch .LBB31_435
.LBB31_434:                             ;   in Loop: Header=BB31_435 Depth=1
	s_or_b64 exec, exec, s[14:15]
	s_mul_i32 s9, s8, s9
	s_mul_hi_u32 s14, s8, s8
	s_add_i32 s14, s14, s9
	s_add_i32 s14, s14, s9
	s_mul_i32 s15, s8, s8
	s_mul_i32 s9, s14, 3
	s_mul_hi_u32 s18, s15, 3
	s_mul_hi_u32 s8, s14, 3
	s_add_u32 s9, s9, s18
	s_addc_u32 s8, s8, 0
	s_mul_i32 s19, s15, 0x80000001
	s_mul_hi_u32 s18, s15, 0x80000001
	s_add_u32 s9, s19, s9
	s_addc_u32 s9, s18, 0
	s_add_u32 s8, s8, s9
	s_addc_u32 s9, 0, 0
	s_mul_i32 s19, s14, 0x80000001
	s_mul_hi_u32 s18, s14, 0x80000001
	s_add_u32 s8, s19, s8
	s_addc_u32 s9, s18, s9
	s_lshr_b32 s18, s9, 30
	s_lshr_b64 s[8:9], s[8:9], 30
	s_mul_i32 s18, s18, 0x7fffffff
	s_mul_hi_u32 s9, s8, 0x7fffffff
	v_lshrrev_b64 v[29:30], 1, v[8:9]
	s_add_i32 s9, s9, s18
	s_mul_i32 s8, s8, 0x7fffffff
	s_sub_u32 s8, s15, s8
	v_cmp_gt_u64_e32 vcc, 2, v[8:9]
	s_subb_u32 s9, s14, s9
	v_mov_b32_e32 v8, v29
	s_or_b64 s[6:7], vcc, s[6:7]
	v_mov_b32_e32 v9, v30
	s_andn2_b64 exec, exec, s[6:7]
	s_cbranch_execz .LBB31_445
.LBB31_435:                             ; =>This Inner Loop Header: Depth=1
	v_and_b32_e32 v6, 1, v8
	v_cmp_eq_u32_e32 vcc, 1, v6
	s_and_saveexec_b64 s[14:15], vcc
	s_cbranch_execz .LBB31_434
; %bb.436:                              ;   in Loop: Header=BB31_435 Depth=1
	v_mad_u64_u32 v[29:30], s[18:19], s8, v10, 0
	v_mul_lo_u32 v10, s9, v10
	v_mul_lo_u32 v11, s8, v11
	v_mul_hi_u32 v6, v29, 5
	v_add3_u32 v30, v30, v11, v10
	v_mad_u64_u32 v[10:11], s[18:19], v30, 5, v[6:7]
	v_mov_b32_e32 v6, v10
	v_mad_u64_u32 v[32:33], s[18:19], v29, 2, v[6:7]
	v_add_co_u32_e32 v10, vcc, v11, v33
	v_addc_co_u32_e64 v11, s[18:19], 0, 0, vcc
	v_mad_u64_u32 v[10:11], s[18:19], v30, 2, v[10:11]
	v_sub_co_u32_e32 v32, vcc, v29, v10
	v_subb_co_u32_e32 v33, vcc, v30, v11, vcc
	v_lshrrev_b64 v[32:33], 1, v[32:33]
	v_add_co_u32_e32 v6, vcc, v32, v10
	v_addc_co_u32_e32 v32, vcc, v33, v11, vcc
	v_alignbit_b32 v6, v32, v6, 30
	v_mad_u64_u32 v[10:11], s[18:19], v6, s17, 0
	v_lshrrev_b32_e32 v32, 30, v32
	v_mov_b32_e32 v6, v11
	v_mad_u64_u32 v[32:33], s[18:19], v32, s17, v[6:7]
	v_sub_co_u32_e32 v10, vcc, v29, v10
	v_subb_co_u32_e32 v11, vcc, v30, v32, vcc
	s_branch .LBB31_434
.LBB31_437:
	s_or_b64 exec, exec, s[6:7]
	v_add_u32_e32 v5, 0x80000001, v9
	v_min_u32_e32 v5, v5, v9
	v_add_u32_e32 v6, 0x80000001, v5
	v_min_u32_e32 v6, v6, v5
.LBB31_438:
	s_or_b64 exec, exec, s[4:5]
	v_mov_b32_e32 v27, 0
	s_movk_i32 s6, 0x1388
	s_mov_b32 s7, 0xbc8f1391
	s_mov_b32 s8, 0xbc8f
	s_brev_b32 s9, 12
	s_mov_b32 s14, 0xf800000
	v_mov_b32_e32 v5, 0x260
.LBB31_439:                             ; =>This Inner Loop Header: Depth=1
	v_mul_hi_u32 v7, v6, s7
	v_add_f32_e32 v8, 1.0, v27
	s_add_i32 s6, s6, -2
	s_cmp_lg_u32 s6, 0
	v_lshrrev_b32_e32 v7, 15, v7
	v_mul_u32_u24_e32 v9, 0xadc8, v7
	v_sub_u32_e32 v6, v6, v9
	v_mul_lo_u32 v6, v6, s8
	v_mul_u32_u24_e32 v7, 0xd47, v7
	v_xor_b32_e32 v9, 0x7fffffff, v7
	v_sub_u32_e32 v10, 0, v7
	v_cmp_lt_u32_e32 vcc, v6, v7
	v_cndmask_b32_e32 v7, v10, v9, vcc
	v_add_u32_e32 v6, v7, v6
	v_mul_hi_u32 v9, v6, s7
	v_add_u32_e32 v7, -1, v6
	v_cvt_f32_u32_e32 v7, v7
	v_lshrrev_b32_e32 v9, 15, v9
	v_mul_u32_u24_e32 v10, 0xadc8, v9
	v_sub_u32_e32 v6, v6, v10
	v_mul_lo_u32 v6, v6, s8
	v_mul_u32_u24_e32 v9, 0xd47, v9
	v_xor_b32_e32 v10, 0x7fffffff, v9
	v_sub_u32_e32 v28, 0, v9
	v_cmp_lt_u32_e32 vcc, v6, v9
	v_cndmask_b32_e32 v9, v28, v10, vcc
	v_add_u32_e32 v6, v9, v6
	v_mul_hi_u32 v10, v6, s7
	v_add_u32_e32 v9, -1, v6
	v_cvt_f32_u32_e32 v9, v9
	v_fma_f32 v7, v7, s9, 0
	v_lshrrev_b32_e32 v10, 15, v10
	v_mul_u32_u24_e32 v28, 0xadc8, v10
	v_fma_f32 v9, v9, s9, 0
	v_sub_u32_e32 v6, v6, v28
	v_mul_f32_e32 v9, v9, v9
	v_mul_lo_u32 v6, v6, s8
	v_fmac_f32_e32 v9, v7, v7
	v_mul_f32_e32 v7, 0x4f800000, v9
	v_cmp_gt_f32_e32 vcc, s14, v9
	v_mul_u32_u24_e32 v10, 0xd47, v10
	v_cndmask_b32_e32 v7, v9, v7, vcc
	v_xor_b32_e32 v28, 0x7fffffff, v10
	v_sub_u32_e32 v29, 0, v10
	v_sqrt_f32_e32 v9, v7
	v_cmp_lt_u32_e64 s[4:5], v6, v10
	v_cndmask_b32_e64 v10, v29, v28, s[4:5]
	v_add_u32_e32 v6, v10, v6
	v_mul_hi_u32 v28, v6, s7
	v_add_u32_e32 v29, -1, v9
	v_add_u32_e32 v30, 1, v9
	v_fma_f32 v31, -v29, v9, v7
	v_fma_f32 v32, -v30, v9, v7
	v_cmp_ge_f32_e64 s[4:5], 0, v31
	v_cndmask_b32_e64 v9, v9, v29, s[4:5]
	v_cmp_lt_f32_e64 s[4:5], 0, v32
	v_lshrrev_b32_e32 v28, 15, v28
	v_cndmask_b32_e64 v9, v9, v30, s[4:5]
	v_mul_u32_u24_e32 v30, 0xadc8, v28
	v_add_u32_e32 v10, -1, v6
	v_sub_u32_e32 v6, v6, v30
	v_mul_f32_e32 v29, 0x37800000, v9
	v_mul_lo_u32 v6, v6, s8
	v_cndmask_b32_e32 v9, v9, v29, vcc
	v_cmp_class_f32_e32 vcc, v7, v5
	v_cndmask_b32_e32 v7, v9, v7, vcc
	v_mul_u32_u24_e32 v28, 0xd47, v28
	v_cmp_nge_f32_e32 vcc, 1.0, v7
	v_xor_b32_e32 v29, 0x7fffffff, v28
	v_sub_u32_e32 v30, 0, v28
	v_cndmask_b32_e32 v7, v8, v27, vcc
	v_cmp_lt_u32_e32 vcc, v6, v28
	v_cndmask_b32_e32 v9, v30, v29, vcc
	v_add_u32_e32 v6, v9, v6
	v_add_u32_e32 v9, -1, v6
	v_cvt_f32_u32_e32 v9, v9
	v_cvt_f32_u32_e32 v10, v10
	v_add_f32_e32 v8, 1.0, v7
	v_fma_f32 v9, v9, s9, 0
	v_fma_f32 v10, v10, s9, 0
	v_mul_f32_e32 v9, v9, v9
	v_fmac_f32_e32 v9, v10, v10
	v_mul_f32_e32 v10, 0x4f800000, v9
	v_cmp_gt_f32_e32 vcc, s14, v9
	v_cndmask_b32_e32 v9, v9, v10, vcc
	v_sqrt_f32_e32 v10, v9
	v_add_u32_e32 v27, -1, v10
	v_add_u32_e32 v28, 1, v10
	v_fma_f32 v29, -v27, v10, v9
	v_fma_f32 v30, -v28, v10, v9
	v_cmp_ge_f32_e64 s[4:5], 0, v29
	v_cndmask_b32_e64 v10, v10, v27, s[4:5]
	v_cmp_lt_f32_e64 s[4:5], 0, v30
	v_cndmask_b32_e64 v10, v10, v28, s[4:5]
	v_mul_f32_e32 v27, 0x37800000, v10
	v_cndmask_b32_e32 v10, v10, v27, vcc
	v_cmp_class_f32_e32 vcc, v9, v5
	v_cndmask_b32_e32 v9, v10, v9, vcc
	v_cmp_nge_f32_e32 vcc, 1.0, v9
	v_cndmask_b32_e32 v27, v8, v7, vcc
	s_cbranch_scc1 .LBB31_439
; %bb.440:
	v_add_u32_e32 v5, 0x124f800, v4
	v_cmp_ne_u32_e32 vcc, 0, v5
	v_mov_b32_e32 v6, 1
	s_and_saveexec_b64 s[4:5], vcc
	s_cbranch_execz .LBB31_460
; %bb.441:
	v_mov_b32_e32 v6, 0
	v_mov_b32_e32 v9, 1
	;; [unrolled: 1-line block ×3, first 2 shown]
	s_mov_b64 s[8:9], 0xbc8f
	v_mov_b32_e32 v10, 0
	s_mov_b64 s[6:7], 0
	s_brev_b32 s17, -2
	v_mov_b32_e32 v7, v5
	s_branch .LBB31_443
.LBB31_442:                             ;   in Loop: Header=BB31_443 Depth=1
	s_or_b64 exec, exec, s[14:15]
	s_mul_i32 s9, s8, s9
	s_mul_hi_u32 s14, s8, s8
	s_add_i32 s14, s14, s9
	s_add_i32 s14, s14, s9
	s_mul_i32 s15, s8, s8
	s_mul_i32 s9, s14, 3
	s_mul_hi_u32 s18, s15, 3
	s_mul_hi_u32 s8, s14, 3
	s_add_u32 s9, s9, s18
	s_addc_u32 s8, s8, 0
	s_mul_i32 s19, s15, 0x80000001
	s_mul_hi_u32 s18, s15, 0x80000001
	s_add_u32 s9, s19, s9
	s_addc_u32 s9, s18, 0
	s_add_u32 s8, s8, s9
	s_addc_u32 s9, 0, 0
	s_mul_i32 s19, s14, 0x80000001
	s_mul_hi_u32 s18, s14, 0x80000001
	s_add_u32 s8, s19, s8
	s_addc_u32 s9, s18, s9
	s_lshr_b32 s18, s9, 30
	s_lshr_b64 s[8:9], s[8:9], 30
	s_mul_i32 s18, s18, 0x7fffffff
	s_mul_hi_u32 s9, s8, 0x7fffffff
	v_lshrrev_b64 v[28:29], 1, v[7:8]
	s_add_i32 s9, s9, s18
	s_mul_i32 s8, s8, 0x7fffffff
	s_sub_u32 s8, s15, s8
	v_cmp_gt_u64_e32 vcc, 2, v[7:8]
	s_subb_u32 s9, s14, s9
	v_mov_b32_e32 v7, v28
	s_or_b64 s[6:7], vcc, s[6:7]
	v_mov_b32_e32 v8, v29
	s_andn2_b64 exec, exec, s[6:7]
	s_cbranch_execz .LBB31_459
.LBB31_443:                             ; =>This Inner Loop Header: Depth=1
	v_and_b32_e32 v5, 1, v7
	v_cmp_eq_u32_e32 vcc, 1, v5
	s_and_saveexec_b64 s[14:15], vcc
	s_cbranch_execz .LBB31_442
; %bb.444:                              ;   in Loop: Header=BB31_443 Depth=1
	v_mad_u64_u32 v[28:29], s[18:19], s8, v9, 0
	v_mul_lo_u32 v9, s9, v9
	v_mul_lo_u32 v10, s8, v10
	v_mul_hi_u32 v5, v28, 5
	v_add3_u32 v31, v29, v10, v9
	v_mad_u64_u32 v[9:10], s[18:19], v31, 5, v[5:6]
	v_mov_b32_e32 v5, v9
	v_mad_u64_u32 v[29:30], s[18:19], v28, 2, v[5:6]
	v_add_co_u32_e32 v9, vcc, v10, v30
	v_addc_co_u32_e64 v10, s[18:19], 0, 0, vcc
	v_mad_u64_u32 v[9:10], s[18:19], v31, 2, v[9:10]
	v_sub_co_u32_e32 v29, vcc, v28, v9
	v_subb_co_u32_e32 v30, vcc, v31, v10, vcc
	v_lshrrev_b64 v[29:30], 1, v[29:30]
	v_add_co_u32_e32 v5, vcc, v29, v9
	v_addc_co_u32_e32 v29, vcc, v30, v10, vcc
	v_alignbit_b32 v5, v29, v5, 30
	v_mad_u64_u32 v[9:10], s[18:19], v5, s17, 0
	v_lshrrev_b32_e32 v29, 30, v29
	v_mov_b32_e32 v5, v10
	v_mad_u64_u32 v[29:30], s[18:19], v29, s17, v[5:6]
	v_sub_co_u32_e32 v9, vcc, v28, v9
	v_subb_co_u32_e32 v10, vcc, v31, v29, vcc
	s_branch .LBB31_442
.LBB31_445:
	s_or_b64 exec, exec, s[6:7]
	v_add_u32_e32 v6, 0x80000001, v10
	v_min_u32_e32 v6, v6, v10
	v_add_u32_e32 v7, 0x80000001, v6
	v_min_u32_e32 v8, v7, v6
.LBB31_446:
	s_or_b64 exec, exec, s[4:5]
	v_mov_b32_e32 v6, 0
	s_movk_i32 s6, 0x1388
	s_mov_b32 s7, 0xbc8f1391
	s_mov_b32 s8, 0xbc8f
	s_brev_b32 s9, 12
	s_mov_b32 s14, 0xf800000
	v_mov_b32_e32 v7, 0x260
.LBB31_447:                             ; =>This Inner Loop Header: Depth=1
	v_mul_hi_u32 v9, v8, s7
	v_add_f32_e32 v10, 1.0, v6
	s_add_i32 s6, s6, -2
	s_cmp_lg_u32 s6, 0
	v_lshrrev_b32_e32 v9, 15, v9
	v_mul_u32_u24_e32 v11, 0xadc8, v9
	v_sub_u32_e32 v8, v8, v11
	v_mul_lo_u32 v8, v8, s8
	v_mul_u32_u24_e32 v9, 0xd47, v9
	v_xor_b32_e32 v11, 0x7fffffff, v9
	v_sub_u32_e32 v29, 0, v9
	v_cmp_lt_u32_e32 vcc, v8, v9
	v_cndmask_b32_e32 v9, v29, v11, vcc
	v_add_u32_e32 v8, v9, v8
	v_mul_hi_u32 v11, v8, s7
	v_add_u32_e32 v9, -1, v8
	v_cvt_f32_u32_e32 v9, v9
	v_lshrrev_b32_e32 v11, 15, v11
	v_mul_u32_u24_e32 v29, 0xadc8, v11
	v_sub_u32_e32 v8, v8, v29
	v_mul_lo_u32 v8, v8, s8
	v_mul_u32_u24_e32 v11, 0xd47, v11
	v_xor_b32_e32 v29, 0x7fffffff, v11
	v_sub_u32_e32 v30, 0, v11
	v_cmp_lt_u32_e32 vcc, v8, v11
	v_cndmask_b32_e32 v11, v30, v29, vcc
	v_add_u32_e32 v8, v11, v8
	v_mul_hi_u32 v29, v8, s7
	v_add_u32_e32 v11, -1, v8
	v_cvt_f32_u32_e32 v11, v11
	v_fma_f32 v9, v9, s9, 0
	v_lshrrev_b32_e32 v29, 15, v29
	v_mul_u32_u24_e32 v30, 0xadc8, v29
	v_fma_f32 v11, v11, s9, 0
	v_sub_u32_e32 v8, v8, v30
	v_mul_f32_e32 v11, v11, v11
	v_mul_lo_u32 v8, v8, s8
	v_fmac_f32_e32 v11, v9, v9
	v_mul_f32_e32 v9, 0x4f800000, v11
	v_cmp_gt_f32_e32 vcc, s14, v11
	v_mul_u32_u24_e32 v29, 0xd47, v29
	v_cndmask_b32_e32 v9, v11, v9, vcc
	v_xor_b32_e32 v30, 0x7fffffff, v29
	v_sub_u32_e32 v32, 0, v29
	v_sqrt_f32_e32 v11, v9
	v_cmp_lt_u32_e64 s[4:5], v8, v29
	v_cndmask_b32_e64 v29, v32, v30, s[4:5]
	v_add_u32_e32 v8, v29, v8
	v_mul_hi_u32 v30, v8, s7
	v_add_u32_e32 v32, -1, v11
	v_add_u32_e32 v33, 1, v11
	v_fma_f32 v34, -v32, v11, v9
	v_fma_f32 v35, -v33, v11, v9
	v_cmp_ge_f32_e64 s[4:5], 0, v34
	v_cndmask_b32_e64 v11, v11, v32, s[4:5]
	v_cmp_lt_f32_e64 s[4:5], 0, v35
	v_lshrrev_b32_e32 v30, 15, v30
	v_cndmask_b32_e64 v11, v11, v33, s[4:5]
	v_mul_u32_u24_e32 v33, 0xadc8, v30
	v_add_u32_e32 v29, -1, v8
	v_sub_u32_e32 v8, v8, v33
	v_mul_f32_e32 v32, 0x37800000, v11
	v_mul_lo_u32 v8, v8, s8
	v_cndmask_b32_e32 v11, v11, v32, vcc
	v_cmp_class_f32_e32 vcc, v9, v7
	v_cndmask_b32_e32 v9, v11, v9, vcc
	v_mul_u32_u24_e32 v30, 0xd47, v30
	v_cmp_nge_f32_e32 vcc, 1.0, v9
	v_xor_b32_e32 v32, 0x7fffffff, v30
	v_sub_u32_e32 v33, 0, v30
	v_cndmask_b32_e32 v6, v10, v6, vcc
	v_cmp_lt_u32_e32 vcc, v8, v30
	v_cndmask_b32_e32 v10, v33, v32, vcc
	v_add_u32_e32 v8, v10, v8
	v_add_u32_e32 v10, -1, v8
	v_cvt_f32_u32_e32 v10, v10
	v_cvt_f32_u32_e32 v29, v29
	v_add_f32_e32 v9, 1.0, v6
	v_fma_f32 v10, v10, s9, 0
	v_fma_f32 v29, v29, s9, 0
	v_mul_f32_e32 v10, v10, v10
	v_fmac_f32_e32 v10, v29, v29
	v_mul_f32_e32 v11, 0x4f800000, v10
	v_cmp_gt_f32_e32 vcc, s14, v10
	v_cndmask_b32_e32 v10, v10, v11, vcc
	v_sqrt_f32_e32 v11, v10
	v_add_u32_e32 v29, -1, v11
	v_add_u32_e32 v30, 1, v11
	v_fma_f32 v32, -v29, v11, v10
	v_fma_f32 v33, -v30, v11, v10
	v_cmp_ge_f32_e64 s[4:5], 0, v32
	v_cndmask_b32_e64 v11, v11, v29, s[4:5]
	v_cmp_lt_f32_e64 s[4:5], 0, v33
	v_cndmask_b32_e64 v11, v11, v30, s[4:5]
	v_mul_f32_e32 v29, 0x37800000, v11
	v_cndmask_b32_e32 v11, v11, v29, vcc
	v_cmp_class_f32_e32 vcc, v10, v7
	v_cndmask_b32_e32 v10, v11, v10, vcc
	v_cmp_nge_f32_e32 vcc, 1.0, v10
	v_cndmask_b32_e32 v6, v9, v6, vcc
	s_cbranch_scc1 .LBB31_447
; %bb.448:
	v_mul_f32_e32 v7, 4.0, v12
	s_mov_b32 s14, 0x459c4000
	v_div_scale_f32 v10, s[4:5], s14, s14, v7
	v_mul_f32_e32 v8, 4.0, v28
	v_div_scale_f32 v12, s[4:5], s14, s14, v8
	v_div_scale_f32 v11, vcc, v7, s14, v7
	v_mul_f32_e32 v9, 4.0, v27
	v_div_scale_f32 v27, s[4:5], v8, s14, v8
	v_div_scale_f32 v28, s[6:7], s14, s14, v9
	;; [unrolled: 1-line block ×3, first 2 shown]
	v_mul_f32_e32 v25, 4.0, v25
	v_mul_f32_e32 v24, 4.0, v24
	v_rcp_f32_e32 v29, v10
	v_div_scale_f32 v35, s[8:9], s14, s14, v24
	v_rcp_f32_e32 v30, v12
	v_fma_f32 v33, -v10, v29, 1.0
	v_fmac_f32_e32 v29, v33, v29
	v_mul_f32_e32 v33, v11, v29
	v_fma_f32 v34, -v12, v30, 1.0
	v_fmac_f32_e32 v30, v34, v30
	v_fma_f32 v34, -v10, v33, v11
	v_fmac_f32_e32 v33, v34, v29
	v_fma_f32 v10, -v10, v33, v11
	v_mul_f32_e32 v11, 4.0, v26
	v_div_scale_f32 v34, s[8:9], s14, s14, v11
	v_div_fmas_f32 v10, v10, v29, v33
	v_mul_f32_e32 v29, v27, v30
	v_fma_f32 v33, -v12, v29, v27
	v_fmac_f32_e32 v29, v33, v30
	v_fma_f32 v12, -v12, v29, v27
	s_mov_b64 vcc, s[4:5]
	v_div_fmas_f32 v12, v12, v30, v29
	v_div_scale_f32 v29, s[4:5], v11, s14, v11
	v_rcp_f32_e32 v26, v28
	v_div_scale_f32 v33, s[8:9], s14, s14, v25
	s_mov_b64 vcc, s[6:7]
	v_fma_f32 v27, -v28, v26, 1.0
	v_fmac_f32_e32 v26, v27, v26
	v_mul_f32_e32 v27, v32, v26
	v_fma_f32 v30, -v28, v27, v32
	v_fmac_f32_e32 v27, v30, v26
	v_rcp_f32_e32 v30, v34
	v_fma_f32 v28, -v28, v27, v32
	v_div_fmas_f32 v26, v28, v26, v27
	v_div_scale_f32 v28, s[6:7], v25, s14, v25
	v_fma_f32 v27, -v34, v30, 1.0
	v_fmac_f32_e32 v30, v27, v30
	v_mul_f32_e32 v27, v29, v30
	v_fma_f32 v32, -v34, v27, v29
	v_fmac_f32_e32 v27, v32, v30
	v_fma_f32 v29, -v34, v27, v29
	s_mov_b64 vcc, s[4:5]
	v_div_fmas_f32 v27, v29, v30, v27
	v_div_scale_f32 v30, s[4:5], v24, s14, v24
	v_rcp_f32_e32 v32, v33
	v_mul_f32_e32 v23, 4.0, v23
	v_div_scale_f32 v36, s[8:9], s14, s14, v23
	v_fma_f32 v29, -v33, v32, 1.0
	v_fmac_f32_e32 v32, v29, v32
	v_mul_f32_e32 v29, v28, v32
	v_fma_f32 v34, -v33, v29, v28
	v_fmac_f32_e32 v29, v34, v32
	v_rcp_f32_e32 v34, v35
	v_fma_f32 v28, -v33, v29, v28
	s_mov_b64 vcc, s[6:7]
	v_div_fmas_f32 v28, v28, v32, v29
	v_div_scale_f32 v32, s[6:7], v23, s14, v23
	v_mul_f32_e32 v22, 4.0, v22
	v_fma_f32 v29, -v35, v34, 1.0
	v_div_scale_f32 v37, s[8:9], s14, s14, v22
	v_fmac_f32_e32 v34, v29, v34
	v_mul_f32_e32 v29, v30, v34
	v_fma_f32 v33, -v35, v29, v30
	v_fmac_f32_e32 v29, v33, v34
	v_fma_f32 v30, -v35, v29, v30
	s_mov_b64 vcc, s[4:5]
	v_div_fmas_f32 v29, v30, v34, v29
	v_div_scale_f32 v34, s[4:5], v22, s14, v22
	v_rcp_f32_e32 v33, v36
	v_mul_f32_e32 v21, 4.0, v21
	v_div_scale_f32 v38, s[8:9], s14, s14, v21
	v_fma_f32 v30, -v36, v33, 1.0
	v_fmac_f32_e32 v33, v30, v33
	v_mul_f32_e32 v30, v32, v33
	v_fma_f32 v35, -v36, v30, v32
	v_fmac_f32_e32 v30, v35, v33
	v_rcp_f32_e32 v35, v37
	v_fma_f32 v32, -v36, v30, v32
	s_mov_b64 vcc, s[6:7]
	v_div_fmas_f32 v30, v32, v33, v30
	v_fma_f32 v32, -v37, v35, 1.0
	v_fmac_f32_e32 v35, v32, v35
	v_div_scale_f32 v33, s[6:7], v21, s14, v21
	v_mul_f32_e32 v32, v34, v35
	v_fma_f32 v36, -v37, v32, v34
	v_mul_f32_e32 v20, 4.0, v20
	v_fmac_f32_e32 v32, v36, v35
	v_div_scale_f32 v36, s[8:9], s14, s14, v20
	v_fma_f32 v34, -v37, v32, v34
	s_mov_b64 vcc, s[4:5]
	v_div_fmas_f32 v32, v34, v35, v32
	v_div_scale_f32 v35, s[4:5], v20, s14, v20
	v_rcp_f32_e32 v39, v38
	v_mul_f32_e32 v19, 4.0, v19
	v_div_scale_f32 v48, s[8:9], s14, s14, v19
	v_fma_f32 v34, -v38, v39, 1.0
	v_fmac_f32_e32 v39, v34, v39
	v_mul_f32_e32 v34, v33, v39
	v_fma_f32 v37, -v38, v34, v33
	v_fmac_f32_e32 v34, v37, v39
	v_rcp_f32_e32 v37, v36
	v_fma_f32 v33, -v38, v34, v33
	v_div_scale_f32 v38, s[8:9], v19, s14, v19
	s_mov_b64 vcc, s[6:7]
	v_div_fmas_f32 v33, v33, v39, v34
	v_fma_f32 v34, -v36, v37, 1.0
	v_fmac_f32_e32 v37, v34, v37
	v_mul_f32_e32 v34, v35, v37
	v_fma_f32 v39, -v36, v34, v35
	v_mul_f32_e32 v18, 4.0, v18
	v_fmac_f32_e32 v34, v39, v37
	v_div_scale_f32 v39, s[6:7], s14, s14, v18
	v_rcp_f32_e32 v49, v48
	v_fma_f32 v35, -v36, v34, v35
	s_mov_b64 vcc, s[4:5]
	v_div_fmas_f32 v34, v35, v37, v34
	v_div_scale_f32 v37, s[4:5], v18, s14, v18
	v_mul_f32_e32 v17, 4.0, v17
	v_div_scale_f32 v50, s[6:7], s14, s14, v17
	v_fma_f32 v35, -v48, v49, 1.0
	v_fmac_f32_e32 v49, v35, v49
	v_mul_f32_e32 v35, v38, v49
	v_fma_f32 v36, -v48, v35, v38
	v_fmac_f32_e32 v35, v36, v49
	v_fma_f32 v36, -v48, v35, v38
	v_div_scale_f32 v48, s[6:7], v17, s14, v17
	v_rcp_f32_e32 v38, v39
	s_mov_b64 vcc, s[8:9]
	v_div_fmas_f32 v35, v36, v49, v35
	v_mul_f32_e32 v16, 4.0, v16
	v_fma_f32 v36, -v39, v38, 1.0
	v_div_scale_f32 v49, s[8:9], s14, s14, v16
	v_fmac_f32_e32 v38, v36, v38
	v_mul_f32_e32 v36, v37, v38
	v_fma_f32 v51, -v39, v36, v37
	v_fmac_f32_e32 v36, v51, v38
	v_rcp_f32_e32 v51, v50
	v_mul_f32_e32 v15, 4.0, v15
	v_fma_f32 v37, -v39, v36, v37
	s_mov_b64 vcc, s[4:5]
	v_div_scale_f32 v39, s[4:5], v16, s14, v16
	v_div_scale_f32 v52, s[8:9], s14, s14, v15
	v_div_fmas_f32 v36, v37, v38, v36
	v_fma_f32 v37, -v50, v51, 1.0
	v_fmac_f32_e32 v51, v37, v51
	v_mul_f32_e32 v37, v48, v51
	v_fma_f32 v38, -v50, v37, v48
	v_fmac_f32_e32 v37, v38, v51
	v_fma_f32 v48, -v50, v37, v48
	s_mov_b64 vcc, s[6:7]
	v_div_scale_f32 v50, s[6:7], v15, s14, v15
	v_rcp_f32_e32 v38, v49
	v_mul_f32_e32 v6, 4.0, v6
	v_div_fmas_f32 v37, v48, v51, v37
	v_div_scale_f32 v51, s[8:9], s14, s14, v6
	v_fma_f32 v48, -v49, v38, 1.0
	v_fmac_f32_e32 v38, v48, v38
	v_mul_f32_e32 v48, v39, v38
	v_rcp_f32_e32 v54, v52
	v_fma_f32 v53, -v49, v48, v39
	v_fmac_f32_e32 v48, v53, v38
	v_fma_f32 v39, -v49, v48, v39
	s_mov_b64 vcc, s[4:5]
	v_div_scale_f32 v53, s[8:9], v6, s14, v6
	v_div_fmas_f32 v38, v39, v38, v48
	v_fma_f32 v39, -v52, v54, 1.0
	v_fmac_f32_e32 v54, v39, v54
	v_mul_f32_e32 v39, v50, v54
	v_fma_f32 v48, -v52, v39, v50
	v_fmac_f32_e32 v39, v48, v54
	v_fma_f32 v49, -v52, v39, v50
	s_mov_b64 vcc, s[6:7]
	v_div_fmas_f32 v39, v49, v54, v39
	v_rcp_f32_e32 v48, v51
	s_mov_b64 vcc, s[8:9]
	v_div_fixup_f32 v17, v37, s14, v17
	v_div_fixup_f32 v18, v36, s14, v18
	v_fma_f32 v49, -v51, v48, 1.0
	v_fmac_f32_e32 v48, v49, v48
	v_mul_f32_e32 v49, v53, v48
	v_fma_f32 v50, -v51, v49, v53
	v_fmac_f32_e32 v49, v50, v48
	v_fma_f32 v50, -v51, v49, v53
	v_div_fmas_f32 v48, v50, v48, v49
	v_div_fixup_f32 v16, v38, s14, v16
	v_div_fixup_f32 v19, v35, s14, v19
	;; [unrolled: 1-line block ×5, first 2 shown]
	v_add_f32_e32 v15, v15, v16
	v_add_f32_e32 v15, v15, v17
	;; [unrolled: 1-line block ×5, first 2 shown]
	v_div_fixup_f32 v22, v32, s14, v22
	v_add_f32_e32 v15, v15, v21
	v_div_fixup_f32 v23, v30, s14, v23
	v_add_f32_e32 v15, v15, v22
	v_div_fixup_f32 v8, v12, s14, v8
	v_div_fixup_f32 v12, v29, s14, v24
	v_add_f32_e32 v15, v15, v23
	v_div_fixup_f32 v7, v10, s14, v7
	v_div_fixup_f32 v10, v27, s14, v11
	;; [unrolled: 1-line block ×3, first 2 shown]
	v_add_f32_e32 v12, v15, v12
	v_add_f32_e32 v11, v12, v11
	v_div_fixup_f32 v9, v26, s14, v9
	v_add_f32_e32 v10, v11, v10
	v_add_f32_e32 v9, v10, v9
	;; [unrolled: 1-line block ×3, first 2 shown]
	v_div_fixup_f32 v6, v48, s14, v6
	v_add_f32_e32 v7, v8, v7
	v_add_f32_e32 v7, v7, v6
	v_mbcnt_lo_u32_b32 v6, -1, 0
	v_mbcnt_hi_u32_b32 v6, -1, v6
	v_add_f32_dpp v7, v7, v7 quad_perm:[1,0,3,2] row_mask:0xf bank_mask:0xf bound_ctrl:1
	v_lshlrev_b32_e32 v8, 2, v6
	v_or_b32_e32 v9, 0xfc, v8
	v_add_f32_dpp v7, v7, v7 quad_perm:[2,3,0,1] row_mask:0xf bank_mask:0xf bound_ctrl:1
	v_cmp_eq_u32_e32 vcc, 0, v6
	s_nop 0
	v_add_f32_dpp v7, v7, v7 row_ror:4 row_mask:0xf bank_mask:0xf bound_ctrl:1
	s_nop 1
	v_add_f32_dpp v7, v7, v7 row_ror:8 row_mask:0xf bank_mask:0xf bound_ctrl:1
	s_nop 1
	v_add_f32_dpp v7, v7, v7 row_bcast:15 row_mask:0xf bank_mask:0xf bound_ctrl:1
	s_nop 1
	v_add_f32_dpp v7, v7, v7 row_bcast:31 row_mask:0xf bank_mask:0xf bound_ctrl:1
	ds_bpermute_b32 v7, v9, v7
	s_and_saveexec_b64 s[4:5], vcc
	s_cbranch_execz .LBB31_450
; %bb.449:
	v_lshrrev_b32_e32 v9, 4, v14
	v_and_b32_e32 v9, 60, v9
	s_waitcnt lgkmcnt(0)
	ds_write_b32 v9, v7
.LBB31_450:
	s_or_b64 exec, exec, s[4:5]
	v_cmp_gt_u32_e32 vcc, 64, v14
	s_waitcnt lgkmcnt(0)
	s_barrier
	s_and_saveexec_b64 s[4:5], vcc
	s_cbranch_execz .LBB31_452
; %bb.451:
	v_and_b32_e32 v7, 3, v6
	v_lshlrev_b32_e32 v9, 2, v7
	ds_read_b32 v9, v9
	v_cmp_ne_u32_e32 vcc, 3, v7
	v_addc_co_u32_e32 v6, vcc, 0, v6, vcc
	v_lshlrev_b32_e32 v6, 2, v6
	s_waitcnt lgkmcnt(0)
	ds_bpermute_b32 v6, v6, v9
	v_or_b32_e32 v7, 8, v8
	s_waitcnt lgkmcnt(0)
	v_add_f32_e32 v6, v9, v6
	ds_bpermute_b32 v7, v7, v6
	s_waitcnt lgkmcnt(0)
	v_add_f32_e32 v7, v6, v7
.LBB31_452:
	s_or_b64 exec, exec, s[4:5]
                                        ; implicit-def: $vgpr15
	s_andn2_saveexec_b64 s[58:59], s[10:11]
	s_cbranch_execz .LBB31_23
.LBB31_453:
	v_subrev_u32_e32 v12, s16, v2
	v_mov_b32_e32 v16, 0
	v_cmp_lt_u32_e32 vcc, v14, v12
	v_mov_b32_e32 v17, v16
	v_mov_b32_e32 v18, v16
	;; [unrolled: 1-line block ×15, first 2 shown]
	s_and_saveexec_b64 s[6:7], vcc
	s_cbranch_execz .LBB31_644
; %bb.454:
	v_add_u32_e32 v6, v15, v14
	s_movk_i32 s4, 0x1388
	v_mul_lo_u32 v6, v6, s4
	v_mov_b32_e32 v8, 1
	v_cmp_ne_u32_e32 vcc, 0, v6
	s_and_saveexec_b64 s[4:5], vcc
	s_cbranch_execz .LBB31_641
; %bb.455:
	v_mov_b32_e32 v7, 0
	v_mov_b32_e32 v10, 1
	;; [unrolled: 1-line block ×3, first 2 shown]
	s_mov_b64 s[10:11], 0xbc8f
	v_mov_b32_e32 v11, 0
	s_mov_b64 s[8:9], 0
	s_brev_b32 s16, -2
	v_mov_b32_e32 v8, v6
	s_branch .LBB31_457
.LBB31_456:                             ;   in Loop: Header=BB31_457 Depth=1
	s_or_b64 exec, exec, s[14:15]
	s_mul_i32 s11, s10, s11
	s_mul_hi_u32 s14, s10, s10
	s_add_i32 s14, s14, s11
	s_add_i32 s14, s14, s11
	s_mul_i32 s15, s10, s10
	s_mul_i32 s11, s14, 3
	s_mul_hi_u32 s17, s15, 3
	s_mul_hi_u32 s10, s14, 3
	s_add_u32 s11, s11, s17
	s_addc_u32 s10, s10, 0
	s_mul_i32 s18, s15, 0x80000001
	s_mul_hi_u32 s17, s15, 0x80000001
	s_add_u32 s11, s18, s11
	s_addc_u32 s11, s17, 0
	s_add_u32 s10, s10, s11
	s_addc_u32 s11, 0, 0
	s_mul_i32 s18, s14, 0x80000001
	s_mul_hi_u32 s17, s14, 0x80000001
	s_add_u32 s10, s18, s10
	s_addc_u32 s11, s17, s11
	s_lshr_b32 s17, s11, 30
	s_lshr_b64 s[10:11], s[10:11], 30
	s_mul_i32 s17, s17, 0x7fffffff
	s_mul_hi_u32 s11, s10, 0x7fffffff
	v_lshrrev_b64 v[16:17], 1, v[8:9]
	s_add_i32 s11, s11, s17
	s_mul_i32 s10, s10, 0x7fffffff
	s_sub_u32 s10, s15, s10
	v_cmp_gt_u64_e32 vcc, 2, v[8:9]
	s_subb_u32 s11, s14, s11
	v_mov_b32_e32 v8, v16
	s_or_b64 s[8:9], vcc, s[8:9]
	v_mov_b32_e32 v9, v17
	s_andn2_b64 exec, exec, s[8:9]
	s_cbranch_execz .LBB31_640
.LBB31_457:                             ; =>This Inner Loop Header: Depth=1
	v_and_b32_e32 v6, 1, v8
	v_cmp_eq_u32_e32 vcc, 1, v6
	s_and_saveexec_b64 s[14:15], vcc
	s_cbranch_execz .LBB31_456
; %bb.458:                              ;   in Loop: Header=BB31_457 Depth=1
	v_mad_u64_u32 v[16:17], s[18:19], s10, v10, 0
	v_mul_lo_u32 v10, s11, v10
	v_mul_lo_u32 v11, s10, v11
	v_mul_hi_u32 v6, v16, 5
	v_add3_u32 v19, v17, v11, v10
	v_mad_u64_u32 v[10:11], s[18:19], v19, 5, v[6:7]
	v_mov_b32_e32 v6, v10
	v_mad_u64_u32 v[17:18], s[18:19], v16, 2, v[6:7]
	v_add_co_u32_e32 v10, vcc, v11, v18
	v_addc_co_u32_e64 v11, s[18:19], 0, 0, vcc
	v_mad_u64_u32 v[10:11], s[18:19], v19, 2, v[10:11]
	v_sub_co_u32_e32 v17, vcc, v16, v10
	v_subb_co_u32_e32 v18, vcc, v19, v11, vcc
	v_lshrrev_b64 v[17:18], 1, v[17:18]
	v_add_co_u32_e32 v6, vcc, v17, v10
	v_addc_co_u32_e32 v17, vcc, v18, v11, vcc
	v_alignbit_b32 v6, v17, v6, 30
	v_mad_u64_u32 v[10:11], s[18:19], v6, s16, 0
	v_lshrrev_b32_e32 v17, 30, v17
	v_mov_b32_e32 v6, v11
	v_mad_u64_u32 v[17:18], s[18:19], v17, s16, v[6:7]
	v_sub_co_u32_e32 v10, vcc, v16, v10
	v_subb_co_u32_e32 v11, vcc, v19, v17, vcc
	s_branch .LBB31_456
.LBB31_459:
	s_or_b64 exec, exec, s[6:7]
	v_add_u32_e32 v5, 0x80000001, v9
	v_min_u32_e32 v5, v5, v9
	v_add_u32_e32 v6, 0x80000001, v5
	v_min_u32_e32 v6, v6, v5
.LBB31_460:
	s_or_b64 exec, exec, s[4:5]
	v_mov_b32_e32 v28, 0
	s_movk_i32 s6, 0x1388
	s_mov_b32 s7, 0xbc8f1391
	s_mov_b32 s8, 0xbc8f
	s_brev_b32 s9, 12
	s_mov_b32 s14, 0xf800000
	v_mov_b32_e32 v5, 0x260
.LBB31_461:                             ; =>This Inner Loop Header: Depth=1
	v_mul_hi_u32 v7, v6, s7
	v_add_f32_e32 v8, 1.0, v28
	s_add_i32 s6, s6, -2
	s_cmp_lg_u32 s6, 0
	v_lshrrev_b32_e32 v7, 15, v7
	v_mul_u32_u24_e32 v9, 0xadc8, v7
	v_sub_u32_e32 v6, v6, v9
	v_mul_lo_u32 v6, v6, s8
	v_mul_u32_u24_e32 v7, 0xd47, v7
	v_xor_b32_e32 v9, 0x7fffffff, v7
	v_sub_u32_e32 v10, 0, v7
	v_cmp_lt_u32_e32 vcc, v6, v7
	v_cndmask_b32_e32 v7, v10, v9, vcc
	v_add_u32_e32 v6, v7, v6
	v_mul_hi_u32 v9, v6, s7
	v_add_u32_e32 v7, -1, v6
	v_cvt_f32_u32_e32 v7, v7
	v_lshrrev_b32_e32 v9, 15, v9
	v_mul_u32_u24_e32 v10, 0xadc8, v9
	v_sub_u32_e32 v6, v6, v10
	v_mul_lo_u32 v6, v6, s8
	v_mul_u32_u24_e32 v9, 0xd47, v9
	v_xor_b32_e32 v10, 0x7fffffff, v9
	v_sub_u32_e32 v29, 0, v9
	v_cmp_lt_u32_e32 vcc, v6, v9
	v_cndmask_b32_e32 v9, v29, v10, vcc
	v_add_u32_e32 v6, v9, v6
	v_mul_hi_u32 v10, v6, s7
	v_add_u32_e32 v9, -1, v6
	v_cvt_f32_u32_e32 v9, v9
	v_fma_f32 v7, v7, s9, 0
	v_lshrrev_b32_e32 v10, 15, v10
	v_mul_u32_u24_e32 v29, 0xadc8, v10
	v_fma_f32 v9, v9, s9, 0
	v_sub_u32_e32 v6, v6, v29
	v_mul_f32_e32 v9, v9, v9
	v_mul_lo_u32 v6, v6, s8
	v_fmac_f32_e32 v9, v7, v7
	v_mul_f32_e32 v7, 0x4f800000, v9
	v_cmp_gt_f32_e32 vcc, s14, v9
	v_mul_u32_u24_e32 v10, 0xd47, v10
	v_cndmask_b32_e32 v7, v9, v7, vcc
	v_xor_b32_e32 v29, 0x7fffffff, v10
	v_sub_u32_e32 v30, 0, v10
	v_sqrt_f32_e32 v9, v7
	v_cmp_lt_u32_e64 s[4:5], v6, v10
	v_cndmask_b32_e64 v10, v30, v29, s[4:5]
	v_add_u32_e32 v6, v10, v6
	v_mul_hi_u32 v29, v6, s7
	v_add_u32_e32 v30, -1, v9
	v_add_u32_e32 v31, 1, v9
	v_fma_f32 v32, -v30, v9, v7
	v_fma_f32 v33, -v31, v9, v7
	v_cmp_ge_f32_e64 s[4:5], 0, v32
	v_cndmask_b32_e64 v9, v9, v30, s[4:5]
	v_cmp_lt_f32_e64 s[4:5], 0, v33
	v_lshrrev_b32_e32 v29, 15, v29
	v_cndmask_b32_e64 v9, v9, v31, s[4:5]
	v_mul_u32_u24_e32 v31, 0xadc8, v29
	v_add_u32_e32 v10, -1, v6
	v_sub_u32_e32 v6, v6, v31
	v_mul_f32_e32 v30, 0x37800000, v9
	v_mul_lo_u32 v6, v6, s8
	v_cndmask_b32_e32 v9, v9, v30, vcc
	v_cmp_class_f32_e32 vcc, v7, v5
	v_cndmask_b32_e32 v7, v9, v7, vcc
	v_mul_u32_u24_e32 v29, 0xd47, v29
	v_cmp_nge_f32_e32 vcc, 1.0, v7
	v_xor_b32_e32 v30, 0x7fffffff, v29
	v_sub_u32_e32 v31, 0, v29
	v_cndmask_b32_e32 v7, v8, v28, vcc
	v_cmp_lt_u32_e32 vcc, v6, v29
	v_cndmask_b32_e32 v9, v31, v30, vcc
	v_add_u32_e32 v6, v9, v6
	v_add_u32_e32 v9, -1, v6
	v_cvt_f32_u32_e32 v9, v9
	v_cvt_f32_u32_e32 v10, v10
	v_add_f32_e32 v8, 1.0, v7
	v_fma_f32 v9, v9, s9, 0
	v_fma_f32 v10, v10, s9, 0
	v_mul_f32_e32 v9, v9, v9
	v_fmac_f32_e32 v9, v10, v10
	v_mul_f32_e32 v10, 0x4f800000, v9
	v_cmp_gt_f32_e32 vcc, s14, v9
	v_cndmask_b32_e32 v9, v9, v10, vcc
	v_sqrt_f32_e32 v10, v9
	v_add_u32_e32 v28, -1, v10
	v_add_u32_e32 v29, 1, v10
	v_fma_f32 v30, -v28, v10, v9
	v_fma_f32 v31, -v29, v10, v9
	v_cmp_ge_f32_e64 s[4:5], 0, v30
	v_cndmask_b32_e64 v10, v10, v28, s[4:5]
	v_cmp_lt_f32_e64 s[4:5], 0, v31
	v_cndmask_b32_e64 v10, v10, v29, s[4:5]
	v_mul_f32_e32 v28, 0x37800000, v10
	v_cndmask_b32_e32 v10, v10, v28, vcc
	v_cmp_class_f32_e32 vcc, v9, v5
	v_cndmask_b32_e32 v9, v10, v9, vcc
	v_cmp_nge_f32_e32 vcc, 1.0, v9
	v_cndmask_b32_e32 v28, v8, v7, vcc
	s_cbranch_scc1 .LBB31_461
; %bb.462:
	v_add_u32_e32 v5, 0x1388000, v4
	v_cmp_ne_u32_e32 vcc, 0, v5
	v_mov_b32_e32 v6, 1
	s_and_saveexec_b64 s[4:5], vcc
	s_cbranch_execz .LBB31_468
; %bb.463:
	v_mov_b32_e32 v6, 0
	v_mov_b32_e32 v9, 1
	;; [unrolled: 1-line block ×3, first 2 shown]
	s_mov_b64 s[8:9], 0xbc8f
	v_mov_b32_e32 v10, 0
	s_mov_b64 s[6:7], 0
	s_brev_b32 s17, -2
	v_mov_b32_e32 v7, v5
	s_branch .LBB31_465
.LBB31_464:                             ;   in Loop: Header=BB31_465 Depth=1
	s_or_b64 exec, exec, s[14:15]
	s_mul_i32 s9, s8, s9
	s_mul_hi_u32 s14, s8, s8
	s_add_i32 s14, s14, s9
	s_add_i32 s14, s14, s9
	s_mul_i32 s15, s8, s8
	s_mul_i32 s9, s14, 3
	s_mul_hi_u32 s18, s15, 3
	s_mul_hi_u32 s8, s14, 3
	s_add_u32 s9, s9, s18
	s_addc_u32 s8, s8, 0
	s_mul_i32 s19, s15, 0x80000001
	s_mul_hi_u32 s18, s15, 0x80000001
	s_add_u32 s9, s19, s9
	s_addc_u32 s9, s18, 0
	s_add_u32 s8, s8, s9
	s_addc_u32 s9, 0, 0
	s_mul_i32 s19, s14, 0x80000001
	s_mul_hi_u32 s18, s14, 0x80000001
	s_add_u32 s8, s19, s8
	s_addc_u32 s9, s18, s9
	s_lshr_b32 s18, s9, 30
	s_lshr_b64 s[8:9], s[8:9], 30
	s_mul_i32 s18, s18, 0x7fffffff
	s_mul_hi_u32 s9, s8, 0x7fffffff
	v_lshrrev_b64 v[29:30], 1, v[7:8]
	s_add_i32 s9, s9, s18
	s_mul_i32 s8, s8, 0x7fffffff
	s_sub_u32 s8, s15, s8
	v_cmp_gt_u64_e32 vcc, 2, v[7:8]
	s_subb_u32 s9, s14, s9
	v_mov_b32_e32 v7, v29
	s_or_b64 s[6:7], vcc, s[6:7]
	v_mov_b32_e32 v8, v30
	s_andn2_b64 exec, exec, s[6:7]
	s_cbranch_execz .LBB31_467
.LBB31_465:                             ; =>This Inner Loop Header: Depth=1
	v_and_b32_e32 v5, 1, v7
	v_cmp_eq_u32_e32 vcc, 1, v5
	s_and_saveexec_b64 s[14:15], vcc
	s_cbranch_execz .LBB31_464
; %bb.466:                              ;   in Loop: Header=BB31_465 Depth=1
	v_mad_u64_u32 v[29:30], s[18:19], s8, v9, 0
	v_mul_lo_u32 v9, s9, v9
	v_mul_lo_u32 v10, s8, v10
	v_mul_hi_u32 v5, v29, 5
	v_add3_u32 v32, v30, v10, v9
	v_mad_u64_u32 v[9:10], s[18:19], v32, 5, v[5:6]
	v_mov_b32_e32 v5, v9
	v_mad_u64_u32 v[30:31], s[18:19], v29, 2, v[5:6]
	v_add_co_u32_e32 v9, vcc, v10, v31
	v_addc_co_u32_e64 v10, s[18:19], 0, 0, vcc
	v_mad_u64_u32 v[9:10], s[18:19], v32, 2, v[9:10]
	v_sub_co_u32_e32 v30, vcc, v29, v9
	v_subb_co_u32_e32 v31, vcc, v32, v10, vcc
	v_lshrrev_b64 v[30:31], 1, v[30:31]
	v_add_co_u32_e32 v5, vcc, v30, v9
	v_addc_co_u32_e32 v30, vcc, v31, v10, vcc
	v_alignbit_b32 v5, v30, v5, 30
	v_mad_u64_u32 v[9:10], s[18:19], v5, s17, 0
	v_lshrrev_b32_e32 v30, 30, v30
	v_mov_b32_e32 v5, v10
	v_mad_u64_u32 v[30:31], s[18:19], v30, s17, v[5:6]
	v_sub_co_u32_e32 v9, vcc, v29, v9
	v_subb_co_u32_e32 v10, vcc, v32, v30, vcc
	s_branch .LBB31_464
.LBB31_467:
	s_or_b64 exec, exec, s[6:7]
	v_add_u32_e32 v5, 0x80000001, v9
	v_min_u32_e32 v5, v5, v9
	v_add_u32_e32 v6, 0x80000001, v5
	v_min_u32_e32 v6, v6, v5
.LBB31_468:
	s_or_b64 exec, exec, s[4:5]
	v_mov_b32_e32 v29, 0
	s_movk_i32 s6, 0x1388
	s_mov_b32 s7, 0xbc8f1391
	s_mov_b32 s8, 0xbc8f
	s_brev_b32 s9, 12
	s_mov_b32 s14, 0xf800000
	v_mov_b32_e32 v5, 0x260
.LBB31_469:                             ; =>This Inner Loop Header: Depth=1
	v_mul_hi_u32 v7, v6, s7
	v_add_f32_e32 v8, 1.0, v29
	s_add_i32 s6, s6, -2
	s_cmp_lg_u32 s6, 0
	v_lshrrev_b32_e32 v7, 15, v7
	v_mul_u32_u24_e32 v9, 0xadc8, v7
	v_sub_u32_e32 v6, v6, v9
	v_mul_lo_u32 v6, v6, s8
	v_mul_u32_u24_e32 v7, 0xd47, v7
	v_xor_b32_e32 v9, 0x7fffffff, v7
	v_sub_u32_e32 v10, 0, v7
	v_cmp_lt_u32_e32 vcc, v6, v7
	v_cndmask_b32_e32 v7, v10, v9, vcc
	v_add_u32_e32 v6, v7, v6
	v_mul_hi_u32 v9, v6, s7
	v_add_u32_e32 v7, -1, v6
	v_cvt_f32_u32_e32 v7, v7
	v_lshrrev_b32_e32 v9, 15, v9
	v_mul_u32_u24_e32 v10, 0xadc8, v9
	v_sub_u32_e32 v6, v6, v10
	v_mul_lo_u32 v6, v6, s8
	v_mul_u32_u24_e32 v9, 0xd47, v9
	v_xor_b32_e32 v10, 0x7fffffff, v9
	v_sub_u32_e32 v30, 0, v9
	v_cmp_lt_u32_e32 vcc, v6, v9
	v_cndmask_b32_e32 v9, v30, v10, vcc
	v_add_u32_e32 v6, v9, v6
	v_mul_hi_u32 v10, v6, s7
	v_add_u32_e32 v9, -1, v6
	v_cvt_f32_u32_e32 v9, v9
	v_fma_f32 v7, v7, s9, 0
	v_lshrrev_b32_e32 v10, 15, v10
	v_mul_u32_u24_e32 v30, 0xadc8, v10
	v_fma_f32 v9, v9, s9, 0
	v_sub_u32_e32 v6, v6, v30
	v_mul_f32_e32 v9, v9, v9
	v_mul_lo_u32 v6, v6, s8
	v_fmac_f32_e32 v9, v7, v7
	v_mul_f32_e32 v7, 0x4f800000, v9
	v_cmp_gt_f32_e32 vcc, s14, v9
	v_mul_u32_u24_e32 v10, 0xd47, v10
	v_cndmask_b32_e32 v7, v9, v7, vcc
	v_xor_b32_e32 v30, 0x7fffffff, v10
	v_sub_u32_e32 v31, 0, v10
	v_sqrt_f32_e32 v9, v7
	v_cmp_lt_u32_e64 s[4:5], v6, v10
	v_cndmask_b32_e64 v10, v31, v30, s[4:5]
	v_add_u32_e32 v6, v10, v6
	v_mul_hi_u32 v30, v6, s7
	v_add_u32_e32 v31, -1, v9
	v_add_u32_e32 v32, 1, v9
	v_fma_f32 v33, -v31, v9, v7
	v_fma_f32 v34, -v32, v9, v7
	v_cmp_ge_f32_e64 s[4:5], 0, v33
	v_cndmask_b32_e64 v9, v9, v31, s[4:5]
	v_cmp_lt_f32_e64 s[4:5], 0, v34
	v_lshrrev_b32_e32 v30, 15, v30
	v_cndmask_b32_e64 v9, v9, v32, s[4:5]
	v_mul_u32_u24_e32 v32, 0xadc8, v30
	v_add_u32_e32 v10, -1, v6
	v_sub_u32_e32 v6, v6, v32
	v_mul_f32_e32 v31, 0x37800000, v9
	v_mul_lo_u32 v6, v6, s8
	v_cndmask_b32_e32 v9, v9, v31, vcc
	v_cmp_class_f32_e32 vcc, v7, v5
	v_cndmask_b32_e32 v7, v9, v7, vcc
	v_mul_u32_u24_e32 v30, 0xd47, v30
	v_cmp_nge_f32_e32 vcc, 1.0, v7
	v_xor_b32_e32 v31, 0x7fffffff, v30
	v_sub_u32_e32 v32, 0, v30
	v_cndmask_b32_e32 v7, v8, v29, vcc
	v_cmp_lt_u32_e32 vcc, v6, v30
	v_cndmask_b32_e32 v9, v32, v31, vcc
	v_add_u32_e32 v6, v9, v6
	v_add_u32_e32 v9, -1, v6
	v_cvt_f32_u32_e32 v9, v9
	v_cvt_f32_u32_e32 v10, v10
	v_add_f32_e32 v8, 1.0, v7
	v_fma_f32 v9, v9, s9, 0
	v_fma_f32 v10, v10, s9, 0
	v_mul_f32_e32 v9, v9, v9
	v_fmac_f32_e32 v9, v10, v10
	v_mul_f32_e32 v10, 0x4f800000, v9
	v_cmp_gt_f32_e32 vcc, s14, v9
	v_cndmask_b32_e32 v9, v9, v10, vcc
	v_sqrt_f32_e32 v10, v9
	v_add_u32_e32 v29, -1, v10
	v_add_u32_e32 v30, 1, v10
	v_fma_f32 v31, -v29, v10, v9
	v_fma_f32 v32, -v30, v10, v9
	v_cmp_ge_f32_e64 s[4:5], 0, v31
	v_cndmask_b32_e64 v10, v10, v29, s[4:5]
	v_cmp_lt_f32_e64 s[4:5], 0, v32
	v_cndmask_b32_e64 v10, v10, v30, s[4:5]
	v_mul_f32_e32 v29, 0x37800000, v10
	v_cndmask_b32_e32 v10, v10, v29, vcc
	v_cmp_class_f32_e32 vcc, v9, v5
	v_cndmask_b32_e32 v9, v10, v9, vcc
	v_cmp_nge_f32_e32 vcc, 1.0, v9
	v_cndmask_b32_e32 v29, v8, v7, vcc
	s_cbranch_scc1 .LBB31_469
; %bb.470:
	v_add_u32_e32 v5, 0x14c0800, v4
	v_cmp_ne_u32_e32 vcc, 0, v5
	v_mov_b32_e32 v6, 1
	s_and_saveexec_b64 s[4:5], vcc
	s_cbranch_execz .LBB31_476
; %bb.471:
	v_mov_b32_e32 v6, 0
	v_mov_b32_e32 v9, 1
	;; [unrolled: 1-line block ×3, first 2 shown]
	s_mov_b64 s[8:9], 0xbc8f
	v_mov_b32_e32 v10, 0
	s_mov_b64 s[6:7], 0
	s_brev_b32 s17, -2
	v_mov_b32_e32 v7, v5
	s_branch .LBB31_473
.LBB31_472:                             ;   in Loop: Header=BB31_473 Depth=1
	s_or_b64 exec, exec, s[14:15]
	s_mul_i32 s9, s8, s9
	s_mul_hi_u32 s14, s8, s8
	s_add_i32 s14, s14, s9
	s_add_i32 s14, s14, s9
	s_mul_i32 s15, s8, s8
	s_mul_i32 s9, s14, 3
	s_mul_hi_u32 s18, s15, 3
	s_mul_hi_u32 s8, s14, 3
	s_add_u32 s9, s9, s18
	s_addc_u32 s8, s8, 0
	s_mul_i32 s19, s15, 0x80000001
	s_mul_hi_u32 s18, s15, 0x80000001
	s_add_u32 s9, s19, s9
	s_addc_u32 s9, s18, 0
	s_add_u32 s8, s8, s9
	s_addc_u32 s9, 0, 0
	s_mul_i32 s19, s14, 0x80000001
	s_mul_hi_u32 s18, s14, 0x80000001
	s_add_u32 s8, s19, s8
	s_addc_u32 s9, s18, s9
	s_lshr_b32 s18, s9, 30
	s_lshr_b64 s[8:9], s[8:9], 30
	s_mul_i32 s18, s18, 0x7fffffff
	s_mul_hi_u32 s9, s8, 0x7fffffff
	v_lshrrev_b64 v[30:31], 1, v[7:8]
	s_add_i32 s9, s9, s18
	s_mul_i32 s8, s8, 0x7fffffff
	s_sub_u32 s8, s15, s8
	v_cmp_gt_u64_e32 vcc, 2, v[7:8]
	s_subb_u32 s9, s14, s9
	v_mov_b32_e32 v7, v30
	s_or_b64 s[6:7], vcc, s[6:7]
	v_mov_b32_e32 v8, v31
	s_andn2_b64 exec, exec, s[6:7]
	s_cbranch_execz .LBB31_475
.LBB31_473:                             ; =>This Inner Loop Header: Depth=1
	v_and_b32_e32 v5, 1, v7
	v_cmp_eq_u32_e32 vcc, 1, v5
	s_and_saveexec_b64 s[14:15], vcc
	s_cbranch_execz .LBB31_472
; %bb.474:                              ;   in Loop: Header=BB31_473 Depth=1
	v_mad_u64_u32 v[30:31], s[18:19], s8, v9, 0
	v_mul_lo_u32 v9, s9, v9
	v_mul_lo_u32 v10, s8, v10
	v_mul_hi_u32 v5, v30, 5
	v_add3_u32 v33, v31, v10, v9
	v_mad_u64_u32 v[9:10], s[18:19], v33, 5, v[5:6]
	v_mov_b32_e32 v5, v9
	v_mad_u64_u32 v[31:32], s[18:19], v30, 2, v[5:6]
	v_add_co_u32_e32 v9, vcc, v10, v32
	v_addc_co_u32_e64 v10, s[18:19], 0, 0, vcc
	v_mad_u64_u32 v[9:10], s[18:19], v33, 2, v[9:10]
	v_sub_co_u32_e32 v31, vcc, v30, v9
	v_subb_co_u32_e32 v32, vcc, v33, v10, vcc
	v_lshrrev_b64 v[31:32], 1, v[31:32]
	v_add_co_u32_e32 v5, vcc, v31, v9
	v_addc_co_u32_e32 v31, vcc, v32, v10, vcc
	v_alignbit_b32 v5, v31, v5, 30
	v_mad_u64_u32 v[9:10], s[18:19], v5, s17, 0
	v_lshrrev_b32_e32 v31, 30, v31
	v_mov_b32_e32 v5, v10
	v_mad_u64_u32 v[31:32], s[18:19], v31, s17, v[5:6]
	v_sub_co_u32_e32 v9, vcc, v30, v9
	v_subb_co_u32_e32 v10, vcc, v33, v31, vcc
	s_branch .LBB31_472
.LBB31_475:
	s_or_b64 exec, exec, s[6:7]
	v_add_u32_e32 v5, 0x80000001, v9
	v_min_u32_e32 v5, v5, v9
	v_add_u32_e32 v6, 0x80000001, v5
	v_min_u32_e32 v6, v6, v5
.LBB31_476:
	s_or_b64 exec, exec, s[4:5]
	v_mov_b32_e32 v30, 0
	s_movk_i32 s6, 0x1388
	s_mov_b32 s7, 0xbc8f1391
	s_mov_b32 s8, 0xbc8f
	s_brev_b32 s9, 12
	s_mov_b32 s14, 0xf800000
	v_mov_b32_e32 v5, 0x260
.LBB31_477:                             ; =>This Inner Loop Header: Depth=1
	v_mul_hi_u32 v7, v6, s7
	v_add_f32_e32 v8, 1.0, v30
	s_add_i32 s6, s6, -2
	s_cmp_lg_u32 s6, 0
	v_lshrrev_b32_e32 v7, 15, v7
	v_mul_u32_u24_e32 v9, 0xadc8, v7
	v_sub_u32_e32 v6, v6, v9
	v_mul_lo_u32 v6, v6, s8
	v_mul_u32_u24_e32 v7, 0xd47, v7
	v_xor_b32_e32 v9, 0x7fffffff, v7
	v_sub_u32_e32 v10, 0, v7
	v_cmp_lt_u32_e32 vcc, v6, v7
	v_cndmask_b32_e32 v7, v10, v9, vcc
	v_add_u32_e32 v6, v7, v6
	v_mul_hi_u32 v9, v6, s7
	v_add_u32_e32 v7, -1, v6
	v_cvt_f32_u32_e32 v7, v7
	v_lshrrev_b32_e32 v9, 15, v9
	v_mul_u32_u24_e32 v10, 0xadc8, v9
	v_sub_u32_e32 v6, v6, v10
	v_mul_lo_u32 v6, v6, s8
	v_mul_u32_u24_e32 v9, 0xd47, v9
	v_xor_b32_e32 v10, 0x7fffffff, v9
	v_sub_u32_e32 v31, 0, v9
	v_cmp_lt_u32_e32 vcc, v6, v9
	v_cndmask_b32_e32 v9, v31, v10, vcc
	v_add_u32_e32 v6, v9, v6
	v_mul_hi_u32 v10, v6, s7
	v_add_u32_e32 v9, -1, v6
	v_cvt_f32_u32_e32 v9, v9
	v_fma_f32 v7, v7, s9, 0
	v_lshrrev_b32_e32 v10, 15, v10
	v_mul_u32_u24_e32 v31, 0xadc8, v10
	v_fma_f32 v9, v9, s9, 0
	v_sub_u32_e32 v6, v6, v31
	v_mul_f32_e32 v9, v9, v9
	v_mul_lo_u32 v6, v6, s8
	v_fmac_f32_e32 v9, v7, v7
	v_mul_f32_e32 v7, 0x4f800000, v9
	v_cmp_gt_f32_e32 vcc, s14, v9
	v_mul_u32_u24_e32 v10, 0xd47, v10
	v_cndmask_b32_e32 v7, v9, v7, vcc
	v_xor_b32_e32 v31, 0x7fffffff, v10
	v_sub_u32_e32 v32, 0, v10
	v_sqrt_f32_e32 v9, v7
	v_cmp_lt_u32_e64 s[4:5], v6, v10
	v_cndmask_b32_e64 v10, v32, v31, s[4:5]
	v_add_u32_e32 v6, v10, v6
	v_mul_hi_u32 v31, v6, s7
	v_add_u32_e32 v32, -1, v9
	v_add_u32_e32 v33, 1, v9
	v_fma_f32 v34, -v32, v9, v7
	v_fma_f32 v35, -v33, v9, v7
	v_cmp_ge_f32_e64 s[4:5], 0, v34
	v_cndmask_b32_e64 v9, v9, v32, s[4:5]
	v_cmp_lt_f32_e64 s[4:5], 0, v35
	v_lshrrev_b32_e32 v31, 15, v31
	v_cndmask_b32_e64 v9, v9, v33, s[4:5]
	v_mul_u32_u24_e32 v33, 0xadc8, v31
	v_add_u32_e32 v10, -1, v6
	v_sub_u32_e32 v6, v6, v33
	v_mul_f32_e32 v32, 0x37800000, v9
	v_mul_lo_u32 v6, v6, s8
	v_cndmask_b32_e32 v9, v9, v32, vcc
	v_cmp_class_f32_e32 vcc, v7, v5
	v_cndmask_b32_e32 v7, v9, v7, vcc
	v_mul_u32_u24_e32 v31, 0xd47, v31
	v_cmp_nge_f32_e32 vcc, 1.0, v7
	v_xor_b32_e32 v32, 0x7fffffff, v31
	v_sub_u32_e32 v33, 0, v31
	v_cndmask_b32_e32 v7, v8, v30, vcc
	v_cmp_lt_u32_e32 vcc, v6, v31
	v_cndmask_b32_e32 v9, v33, v32, vcc
	v_add_u32_e32 v6, v9, v6
	v_add_u32_e32 v9, -1, v6
	v_cvt_f32_u32_e32 v9, v9
	v_cvt_f32_u32_e32 v10, v10
	v_add_f32_e32 v8, 1.0, v7
	v_fma_f32 v9, v9, s9, 0
	v_fma_f32 v10, v10, s9, 0
	v_mul_f32_e32 v9, v9, v9
	v_fmac_f32_e32 v9, v10, v10
	v_mul_f32_e32 v10, 0x4f800000, v9
	v_cmp_gt_f32_e32 vcc, s14, v9
	v_cndmask_b32_e32 v9, v9, v10, vcc
	v_sqrt_f32_e32 v10, v9
	v_add_u32_e32 v30, -1, v10
	v_add_u32_e32 v31, 1, v10
	v_fma_f32 v32, -v30, v10, v9
	v_fma_f32 v33, -v31, v10, v9
	v_cmp_ge_f32_e64 s[4:5], 0, v32
	v_cndmask_b32_e64 v10, v10, v30, s[4:5]
	v_cmp_lt_f32_e64 s[4:5], 0, v33
	v_cndmask_b32_e64 v10, v10, v31, s[4:5]
	v_mul_f32_e32 v30, 0x37800000, v10
	v_cndmask_b32_e32 v10, v10, v30, vcc
	v_cmp_class_f32_e32 vcc, v9, v5
	v_cndmask_b32_e32 v9, v10, v9, vcc
	v_cmp_nge_f32_e32 vcc, 1.0, v9
	v_cndmask_b32_e32 v30, v8, v7, vcc
	s_cbranch_scc1 .LBB31_477
; %bb.478:
	v_add_u32_e32 v5, 0x15f9000, v4
	v_cmp_ne_u32_e32 vcc, 0, v5
	v_mov_b32_e32 v6, 1
	s_and_saveexec_b64 s[4:5], vcc
	s_cbranch_execz .LBB31_484
; %bb.479:
	v_mov_b32_e32 v6, 0
	v_mov_b32_e32 v9, 1
	;; [unrolled: 1-line block ×3, first 2 shown]
	s_mov_b64 s[8:9], 0xbc8f
	v_mov_b32_e32 v10, 0
	s_mov_b64 s[6:7], 0
	s_brev_b32 s17, -2
	v_mov_b32_e32 v7, v5
	s_branch .LBB31_481
.LBB31_480:                             ;   in Loop: Header=BB31_481 Depth=1
	s_or_b64 exec, exec, s[14:15]
	s_mul_i32 s9, s8, s9
	s_mul_hi_u32 s14, s8, s8
	s_add_i32 s14, s14, s9
	s_add_i32 s14, s14, s9
	s_mul_i32 s15, s8, s8
	s_mul_i32 s9, s14, 3
	s_mul_hi_u32 s18, s15, 3
	s_mul_hi_u32 s8, s14, 3
	s_add_u32 s9, s9, s18
	s_addc_u32 s8, s8, 0
	s_mul_i32 s19, s15, 0x80000001
	s_mul_hi_u32 s18, s15, 0x80000001
	s_add_u32 s9, s19, s9
	s_addc_u32 s9, s18, 0
	s_add_u32 s8, s8, s9
	s_addc_u32 s9, 0, 0
	s_mul_i32 s19, s14, 0x80000001
	s_mul_hi_u32 s18, s14, 0x80000001
	s_add_u32 s8, s19, s8
	s_addc_u32 s9, s18, s9
	s_lshr_b32 s18, s9, 30
	s_lshr_b64 s[8:9], s[8:9], 30
	s_mul_i32 s18, s18, 0x7fffffff
	s_mul_hi_u32 s9, s8, 0x7fffffff
	v_lshrrev_b64 v[31:32], 1, v[7:8]
	s_add_i32 s9, s9, s18
	s_mul_i32 s8, s8, 0x7fffffff
	s_sub_u32 s8, s15, s8
	v_cmp_gt_u64_e32 vcc, 2, v[7:8]
	s_subb_u32 s9, s14, s9
	v_mov_b32_e32 v7, v31
	s_or_b64 s[6:7], vcc, s[6:7]
	v_mov_b32_e32 v8, v32
	s_andn2_b64 exec, exec, s[6:7]
	s_cbranch_execz .LBB31_483
.LBB31_481:                             ; =>This Inner Loop Header: Depth=1
	v_and_b32_e32 v5, 1, v7
	v_cmp_eq_u32_e32 vcc, 1, v5
	s_and_saveexec_b64 s[14:15], vcc
	s_cbranch_execz .LBB31_480
; %bb.482:                              ;   in Loop: Header=BB31_481 Depth=1
	v_mad_u64_u32 v[31:32], s[18:19], s8, v9, 0
	v_mul_lo_u32 v9, s9, v9
	v_mul_lo_u32 v10, s8, v10
	v_mul_hi_u32 v5, v31, 5
	v_add3_u32 v34, v32, v10, v9
	v_mad_u64_u32 v[9:10], s[18:19], v34, 5, v[5:6]
	v_mov_b32_e32 v5, v9
	v_mad_u64_u32 v[32:33], s[18:19], v31, 2, v[5:6]
	v_add_co_u32_e32 v9, vcc, v10, v33
	v_addc_co_u32_e64 v10, s[18:19], 0, 0, vcc
	v_mad_u64_u32 v[9:10], s[18:19], v34, 2, v[9:10]
	v_sub_co_u32_e32 v32, vcc, v31, v9
	v_subb_co_u32_e32 v33, vcc, v34, v10, vcc
	v_lshrrev_b64 v[32:33], 1, v[32:33]
	v_add_co_u32_e32 v5, vcc, v32, v9
	v_addc_co_u32_e32 v32, vcc, v33, v10, vcc
	v_alignbit_b32 v5, v32, v5, 30
	v_mad_u64_u32 v[9:10], s[18:19], v5, s17, 0
	v_lshrrev_b32_e32 v32, 30, v32
	v_mov_b32_e32 v5, v10
	v_mad_u64_u32 v[32:33], s[18:19], v32, s17, v[5:6]
	v_sub_co_u32_e32 v9, vcc, v31, v9
	v_subb_co_u32_e32 v10, vcc, v34, v32, vcc
	s_branch .LBB31_480
.LBB31_483:
	s_or_b64 exec, exec, s[6:7]
	v_add_u32_e32 v5, 0x80000001, v9
	v_min_u32_e32 v5, v5, v9
	v_add_u32_e32 v6, 0x80000001, v5
	v_min_u32_e32 v6, v6, v5
.LBB31_484:
	s_or_b64 exec, exec, s[4:5]
	v_mov_b32_e32 v31, 0
	s_movk_i32 s6, 0x1388
	s_mov_b32 s7, 0xbc8f1391
	s_mov_b32 s8, 0xbc8f
	s_brev_b32 s9, 12
	s_mov_b32 s14, 0xf800000
	v_mov_b32_e32 v5, 0x260
.LBB31_485:                             ; =>This Inner Loop Header: Depth=1
	v_mul_hi_u32 v7, v6, s7
	v_add_f32_e32 v8, 1.0, v31
	s_add_i32 s6, s6, -2
	s_cmp_lg_u32 s6, 0
	v_lshrrev_b32_e32 v7, 15, v7
	v_mul_u32_u24_e32 v9, 0xadc8, v7
	v_sub_u32_e32 v6, v6, v9
	v_mul_lo_u32 v6, v6, s8
	v_mul_u32_u24_e32 v7, 0xd47, v7
	v_xor_b32_e32 v9, 0x7fffffff, v7
	v_sub_u32_e32 v10, 0, v7
	v_cmp_lt_u32_e32 vcc, v6, v7
	v_cndmask_b32_e32 v7, v10, v9, vcc
	v_add_u32_e32 v6, v7, v6
	v_mul_hi_u32 v9, v6, s7
	v_add_u32_e32 v7, -1, v6
	v_cvt_f32_u32_e32 v7, v7
	v_lshrrev_b32_e32 v9, 15, v9
	v_mul_u32_u24_e32 v10, 0xadc8, v9
	v_sub_u32_e32 v6, v6, v10
	v_mul_lo_u32 v6, v6, s8
	v_mul_u32_u24_e32 v9, 0xd47, v9
	v_xor_b32_e32 v10, 0x7fffffff, v9
	v_sub_u32_e32 v32, 0, v9
	v_cmp_lt_u32_e32 vcc, v6, v9
	v_cndmask_b32_e32 v9, v32, v10, vcc
	v_add_u32_e32 v6, v9, v6
	v_mul_hi_u32 v10, v6, s7
	v_add_u32_e32 v9, -1, v6
	v_cvt_f32_u32_e32 v9, v9
	v_fma_f32 v7, v7, s9, 0
	v_lshrrev_b32_e32 v10, 15, v10
	v_mul_u32_u24_e32 v32, 0xadc8, v10
	v_fma_f32 v9, v9, s9, 0
	v_sub_u32_e32 v6, v6, v32
	v_mul_f32_e32 v9, v9, v9
	v_mul_lo_u32 v6, v6, s8
	v_fmac_f32_e32 v9, v7, v7
	v_mul_f32_e32 v7, 0x4f800000, v9
	v_cmp_gt_f32_e32 vcc, s14, v9
	v_mul_u32_u24_e32 v10, 0xd47, v10
	v_cndmask_b32_e32 v7, v9, v7, vcc
	v_xor_b32_e32 v32, 0x7fffffff, v10
	v_sub_u32_e32 v33, 0, v10
	v_sqrt_f32_e32 v9, v7
	v_cmp_lt_u32_e64 s[4:5], v6, v10
	v_cndmask_b32_e64 v10, v33, v32, s[4:5]
	v_add_u32_e32 v6, v10, v6
	v_mul_hi_u32 v32, v6, s7
	v_add_u32_e32 v33, -1, v9
	v_add_u32_e32 v34, 1, v9
	v_fma_f32 v35, -v33, v9, v7
	v_fma_f32 v36, -v34, v9, v7
	v_cmp_ge_f32_e64 s[4:5], 0, v35
	v_cndmask_b32_e64 v9, v9, v33, s[4:5]
	v_cmp_lt_f32_e64 s[4:5], 0, v36
	v_lshrrev_b32_e32 v32, 15, v32
	v_cndmask_b32_e64 v9, v9, v34, s[4:5]
	v_mul_u32_u24_e32 v34, 0xadc8, v32
	v_add_u32_e32 v10, -1, v6
	v_sub_u32_e32 v6, v6, v34
	v_mul_f32_e32 v33, 0x37800000, v9
	v_mul_lo_u32 v6, v6, s8
	v_cndmask_b32_e32 v9, v9, v33, vcc
	v_cmp_class_f32_e32 vcc, v7, v5
	v_cndmask_b32_e32 v7, v9, v7, vcc
	v_mul_u32_u24_e32 v32, 0xd47, v32
	v_cmp_nge_f32_e32 vcc, 1.0, v7
	v_xor_b32_e32 v33, 0x7fffffff, v32
	v_sub_u32_e32 v34, 0, v32
	v_cndmask_b32_e32 v7, v8, v31, vcc
	v_cmp_lt_u32_e32 vcc, v6, v32
	v_cndmask_b32_e32 v9, v34, v33, vcc
	v_add_u32_e32 v6, v9, v6
	v_add_u32_e32 v9, -1, v6
	v_cvt_f32_u32_e32 v9, v9
	v_cvt_f32_u32_e32 v10, v10
	v_add_f32_e32 v8, 1.0, v7
	v_fma_f32 v9, v9, s9, 0
	v_fma_f32 v10, v10, s9, 0
	v_mul_f32_e32 v9, v9, v9
	v_fmac_f32_e32 v9, v10, v10
	v_mul_f32_e32 v10, 0x4f800000, v9
	v_cmp_gt_f32_e32 vcc, s14, v9
	v_cndmask_b32_e32 v9, v9, v10, vcc
	v_sqrt_f32_e32 v10, v9
	v_add_u32_e32 v31, -1, v10
	v_add_u32_e32 v32, 1, v10
	v_fma_f32 v33, -v31, v10, v9
	v_fma_f32 v34, -v32, v10, v9
	v_cmp_ge_f32_e64 s[4:5], 0, v33
	v_cndmask_b32_e64 v10, v10, v31, s[4:5]
	v_cmp_lt_f32_e64 s[4:5], 0, v34
	v_cndmask_b32_e64 v10, v10, v32, s[4:5]
	v_mul_f32_e32 v31, 0x37800000, v10
	v_cndmask_b32_e32 v10, v10, v31, vcc
	v_cmp_class_f32_e32 vcc, v9, v5
	v_cndmask_b32_e32 v9, v10, v9, vcc
	v_cmp_nge_f32_e32 vcc, 1.0, v9
	v_cndmask_b32_e32 v31, v8, v7, vcc
	s_cbranch_scc1 .LBB31_485
; %bb.486:
	v_add_u32_e32 v5, 0x1731800, v4
	v_cmp_ne_u32_e32 vcc, 0, v5
	v_mov_b32_e32 v6, 1
	s_and_saveexec_b64 s[4:5], vcc
	s_cbranch_execz .LBB31_492
; %bb.487:
	v_mov_b32_e32 v6, 0
	v_mov_b32_e32 v9, 1
	;; [unrolled: 1-line block ×3, first 2 shown]
	s_mov_b64 s[8:9], 0xbc8f
	v_mov_b32_e32 v10, 0
	s_mov_b64 s[6:7], 0
	s_brev_b32 s17, -2
	v_mov_b32_e32 v7, v5
	s_branch .LBB31_489
.LBB31_488:                             ;   in Loop: Header=BB31_489 Depth=1
	s_or_b64 exec, exec, s[14:15]
	s_mul_i32 s9, s8, s9
	s_mul_hi_u32 s14, s8, s8
	s_add_i32 s14, s14, s9
	s_add_i32 s14, s14, s9
	s_mul_i32 s15, s8, s8
	s_mul_i32 s9, s14, 3
	s_mul_hi_u32 s18, s15, 3
	s_mul_hi_u32 s8, s14, 3
	s_add_u32 s9, s9, s18
	s_addc_u32 s8, s8, 0
	s_mul_i32 s19, s15, 0x80000001
	s_mul_hi_u32 s18, s15, 0x80000001
	s_add_u32 s9, s19, s9
	s_addc_u32 s9, s18, 0
	s_add_u32 s8, s8, s9
	s_addc_u32 s9, 0, 0
	s_mul_i32 s19, s14, 0x80000001
	s_mul_hi_u32 s18, s14, 0x80000001
	s_add_u32 s8, s19, s8
	s_addc_u32 s9, s18, s9
	s_lshr_b32 s18, s9, 30
	s_lshr_b64 s[8:9], s[8:9], 30
	s_mul_i32 s18, s18, 0x7fffffff
	s_mul_hi_u32 s9, s8, 0x7fffffff
	v_lshrrev_b64 v[32:33], 1, v[7:8]
	s_add_i32 s9, s9, s18
	s_mul_i32 s8, s8, 0x7fffffff
	s_sub_u32 s8, s15, s8
	v_cmp_gt_u64_e32 vcc, 2, v[7:8]
	s_subb_u32 s9, s14, s9
	v_mov_b32_e32 v7, v32
	s_or_b64 s[6:7], vcc, s[6:7]
	v_mov_b32_e32 v8, v33
	s_andn2_b64 exec, exec, s[6:7]
	s_cbranch_execz .LBB31_491
.LBB31_489:                             ; =>This Inner Loop Header: Depth=1
	v_and_b32_e32 v5, 1, v7
	v_cmp_eq_u32_e32 vcc, 1, v5
	s_and_saveexec_b64 s[14:15], vcc
	s_cbranch_execz .LBB31_488
; %bb.490:                              ;   in Loop: Header=BB31_489 Depth=1
	v_mad_u64_u32 v[32:33], s[18:19], s8, v9, 0
	v_mul_lo_u32 v9, s9, v9
	v_mul_lo_u32 v10, s8, v10
	v_mul_hi_u32 v5, v32, 5
	v_add3_u32 v35, v33, v10, v9
	v_mad_u64_u32 v[9:10], s[18:19], v35, 5, v[5:6]
	v_mov_b32_e32 v5, v9
	v_mad_u64_u32 v[33:34], s[18:19], v32, 2, v[5:6]
	v_add_co_u32_e32 v9, vcc, v10, v34
	v_addc_co_u32_e64 v10, s[18:19], 0, 0, vcc
	v_mad_u64_u32 v[9:10], s[18:19], v35, 2, v[9:10]
	v_sub_co_u32_e32 v33, vcc, v32, v9
	v_subb_co_u32_e32 v34, vcc, v35, v10, vcc
	v_lshrrev_b64 v[33:34], 1, v[33:34]
	v_add_co_u32_e32 v5, vcc, v33, v9
	v_addc_co_u32_e32 v33, vcc, v34, v10, vcc
	v_alignbit_b32 v5, v33, v5, 30
	v_mad_u64_u32 v[9:10], s[18:19], v5, s17, 0
	v_lshrrev_b32_e32 v33, 30, v33
	v_mov_b32_e32 v5, v10
	v_mad_u64_u32 v[33:34], s[18:19], v33, s17, v[5:6]
	v_sub_co_u32_e32 v9, vcc, v32, v9
	v_subb_co_u32_e32 v10, vcc, v35, v33, vcc
	s_branch .LBB31_488
.LBB31_491:
	s_or_b64 exec, exec, s[6:7]
	v_add_u32_e32 v5, 0x80000001, v9
	v_min_u32_e32 v5, v5, v9
	v_add_u32_e32 v6, 0x80000001, v5
	v_min_u32_e32 v6, v6, v5
.LBB31_492:
	s_or_b64 exec, exec, s[4:5]
	v_mov_b32_e32 v32, 0
	s_movk_i32 s6, 0x1388
	s_mov_b32 s7, 0xbc8f1391
	s_mov_b32 s8, 0xbc8f
	s_brev_b32 s9, 12
	s_mov_b32 s14, 0xf800000
	v_mov_b32_e32 v5, 0x260
.LBB31_493:                             ; =>This Inner Loop Header: Depth=1
	v_mul_hi_u32 v7, v6, s7
	v_add_f32_e32 v8, 1.0, v32
	s_add_i32 s6, s6, -2
	s_cmp_lg_u32 s6, 0
	v_lshrrev_b32_e32 v7, 15, v7
	v_mul_u32_u24_e32 v9, 0xadc8, v7
	v_sub_u32_e32 v6, v6, v9
	v_mul_lo_u32 v6, v6, s8
	v_mul_u32_u24_e32 v7, 0xd47, v7
	v_xor_b32_e32 v9, 0x7fffffff, v7
	v_sub_u32_e32 v10, 0, v7
	v_cmp_lt_u32_e32 vcc, v6, v7
	v_cndmask_b32_e32 v7, v10, v9, vcc
	v_add_u32_e32 v6, v7, v6
	v_mul_hi_u32 v9, v6, s7
	v_add_u32_e32 v7, -1, v6
	v_cvt_f32_u32_e32 v7, v7
	v_lshrrev_b32_e32 v9, 15, v9
	v_mul_u32_u24_e32 v10, 0xadc8, v9
	v_sub_u32_e32 v6, v6, v10
	v_mul_lo_u32 v6, v6, s8
	v_mul_u32_u24_e32 v9, 0xd47, v9
	v_xor_b32_e32 v10, 0x7fffffff, v9
	v_sub_u32_e32 v33, 0, v9
	v_cmp_lt_u32_e32 vcc, v6, v9
	v_cndmask_b32_e32 v9, v33, v10, vcc
	v_add_u32_e32 v6, v9, v6
	v_mul_hi_u32 v10, v6, s7
	v_add_u32_e32 v9, -1, v6
	v_cvt_f32_u32_e32 v9, v9
	v_fma_f32 v7, v7, s9, 0
	v_lshrrev_b32_e32 v10, 15, v10
	v_mul_u32_u24_e32 v33, 0xadc8, v10
	v_fma_f32 v9, v9, s9, 0
	v_sub_u32_e32 v6, v6, v33
	v_mul_f32_e32 v9, v9, v9
	v_mul_lo_u32 v6, v6, s8
	v_fmac_f32_e32 v9, v7, v7
	v_mul_f32_e32 v7, 0x4f800000, v9
	v_cmp_gt_f32_e32 vcc, s14, v9
	v_mul_u32_u24_e32 v10, 0xd47, v10
	v_cndmask_b32_e32 v7, v9, v7, vcc
	v_xor_b32_e32 v33, 0x7fffffff, v10
	v_sub_u32_e32 v34, 0, v10
	v_sqrt_f32_e32 v9, v7
	v_cmp_lt_u32_e64 s[4:5], v6, v10
	v_cndmask_b32_e64 v10, v34, v33, s[4:5]
	v_add_u32_e32 v6, v10, v6
	v_mul_hi_u32 v33, v6, s7
	v_add_u32_e32 v34, -1, v9
	v_add_u32_e32 v35, 1, v9
	v_fma_f32 v36, -v34, v9, v7
	v_fma_f32 v37, -v35, v9, v7
	v_cmp_ge_f32_e64 s[4:5], 0, v36
	v_cndmask_b32_e64 v9, v9, v34, s[4:5]
	v_cmp_lt_f32_e64 s[4:5], 0, v37
	v_lshrrev_b32_e32 v33, 15, v33
	v_cndmask_b32_e64 v9, v9, v35, s[4:5]
	v_mul_u32_u24_e32 v35, 0xadc8, v33
	v_add_u32_e32 v10, -1, v6
	v_sub_u32_e32 v6, v6, v35
	v_mul_f32_e32 v34, 0x37800000, v9
	v_mul_lo_u32 v6, v6, s8
	v_cndmask_b32_e32 v9, v9, v34, vcc
	v_cmp_class_f32_e32 vcc, v7, v5
	v_cndmask_b32_e32 v7, v9, v7, vcc
	v_mul_u32_u24_e32 v33, 0xd47, v33
	v_cmp_nge_f32_e32 vcc, 1.0, v7
	v_xor_b32_e32 v34, 0x7fffffff, v33
	v_sub_u32_e32 v35, 0, v33
	v_cndmask_b32_e32 v7, v8, v32, vcc
	v_cmp_lt_u32_e32 vcc, v6, v33
	v_cndmask_b32_e32 v9, v35, v34, vcc
	v_add_u32_e32 v6, v9, v6
	v_add_u32_e32 v9, -1, v6
	v_cvt_f32_u32_e32 v9, v9
	v_cvt_f32_u32_e32 v10, v10
	v_add_f32_e32 v8, 1.0, v7
	v_fma_f32 v9, v9, s9, 0
	v_fma_f32 v10, v10, s9, 0
	v_mul_f32_e32 v9, v9, v9
	v_fmac_f32_e32 v9, v10, v10
	v_mul_f32_e32 v10, 0x4f800000, v9
	v_cmp_gt_f32_e32 vcc, s14, v9
	v_cndmask_b32_e32 v9, v9, v10, vcc
	v_sqrt_f32_e32 v10, v9
	v_add_u32_e32 v32, -1, v10
	v_add_u32_e32 v33, 1, v10
	v_fma_f32 v34, -v32, v10, v9
	v_fma_f32 v35, -v33, v10, v9
	v_cmp_ge_f32_e64 s[4:5], 0, v34
	v_cndmask_b32_e64 v10, v10, v32, s[4:5]
	v_cmp_lt_f32_e64 s[4:5], 0, v35
	v_cndmask_b32_e64 v10, v10, v33, s[4:5]
	v_mul_f32_e32 v32, 0x37800000, v10
	v_cndmask_b32_e32 v10, v10, v32, vcc
	v_cmp_class_f32_e32 vcc, v9, v5
	v_cndmask_b32_e32 v9, v10, v9, vcc
	v_cmp_nge_f32_e32 vcc, 1.0, v9
	v_cndmask_b32_e32 v32, v8, v7, vcc
	s_cbranch_scc1 .LBB31_493
; %bb.494:
	v_add_u32_e32 v5, 0x186a000, v4
	v_cmp_ne_u32_e32 vcc, 0, v5
	v_mov_b32_e32 v6, 1
	s_and_saveexec_b64 s[4:5], vcc
	s_cbranch_execz .LBB31_500
; %bb.495:
	v_mov_b32_e32 v6, 0
	v_mov_b32_e32 v9, 1
	;; [unrolled: 1-line block ×3, first 2 shown]
	s_mov_b64 s[8:9], 0xbc8f
	v_mov_b32_e32 v10, 0
	s_mov_b64 s[6:7], 0
	s_brev_b32 s17, -2
	v_mov_b32_e32 v7, v5
	s_branch .LBB31_497
.LBB31_496:                             ;   in Loop: Header=BB31_497 Depth=1
	s_or_b64 exec, exec, s[14:15]
	s_mul_i32 s9, s8, s9
	s_mul_hi_u32 s14, s8, s8
	s_add_i32 s14, s14, s9
	s_add_i32 s14, s14, s9
	s_mul_i32 s15, s8, s8
	s_mul_i32 s9, s14, 3
	s_mul_hi_u32 s18, s15, 3
	s_mul_hi_u32 s8, s14, 3
	s_add_u32 s9, s9, s18
	s_addc_u32 s8, s8, 0
	s_mul_i32 s19, s15, 0x80000001
	s_mul_hi_u32 s18, s15, 0x80000001
	s_add_u32 s9, s19, s9
	s_addc_u32 s9, s18, 0
	s_add_u32 s8, s8, s9
	s_addc_u32 s9, 0, 0
	s_mul_i32 s19, s14, 0x80000001
	s_mul_hi_u32 s18, s14, 0x80000001
	s_add_u32 s8, s19, s8
	s_addc_u32 s9, s18, s9
	s_lshr_b32 s18, s9, 30
	s_lshr_b64 s[8:9], s[8:9], 30
	s_mul_i32 s18, s18, 0x7fffffff
	s_mul_hi_u32 s9, s8, 0x7fffffff
	v_lshrrev_b64 v[33:34], 1, v[7:8]
	s_add_i32 s9, s9, s18
	s_mul_i32 s8, s8, 0x7fffffff
	s_sub_u32 s8, s15, s8
	v_cmp_gt_u64_e32 vcc, 2, v[7:8]
	s_subb_u32 s9, s14, s9
	v_mov_b32_e32 v7, v33
	s_or_b64 s[6:7], vcc, s[6:7]
	v_mov_b32_e32 v8, v34
	s_andn2_b64 exec, exec, s[6:7]
	s_cbranch_execz .LBB31_499
.LBB31_497:                             ; =>This Inner Loop Header: Depth=1
	v_and_b32_e32 v5, 1, v7
	v_cmp_eq_u32_e32 vcc, 1, v5
	s_and_saveexec_b64 s[14:15], vcc
	s_cbranch_execz .LBB31_496
; %bb.498:                              ;   in Loop: Header=BB31_497 Depth=1
	v_mad_u64_u32 v[33:34], s[18:19], s8, v9, 0
	v_mul_lo_u32 v9, s9, v9
	v_mul_lo_u32 v10, s8, v10
	v_mul_hi_u32 v5, v33, 5
	v_add3_u32 v36, v34, v10, v9
	v_mad_u64_u32 v[9:10], s[18:19], v36, 5, v[5:6]
	v_mov_b32_e32 v5, v9
	v_mad_u64_u32 v[34:35], s[18:19], v33, 2, v[5:6]
	v_add_co_u32_e32 v9, vcc, v10, v35
	v_addc_co_u32_e64 v10, s[18:19], 0, 0, vcc
	v_mad_u64_u32 v[9:10], s[18:19], v36, 2, v[9:10]
	v_sub_co_u32_e32 v34, vcc, v33, v9
	v_subb_co_u32_e32 v35, vcc, v36, v10, vcc
	v_lshrrev_b64 v[34:35], 1, v[34:35]
	v_add_co_u32_e32 v5, vcc, v34, v9
	v_addc_co_u32_e32 v34, vcc, v35, v10, vcc
	v_alignbit_b32 v5, v34, v5, 30
	v_mad_u64_u32 v[9:10], s[18:19], v5, s17, 0
	v_lshrrev_b32_e32 v34, 30, v34
	v_mov_b32_e32 v5, v10
	v_mad_u64_u32 v[34:35], s[18:19], v34, s17, v[5:6]
	v_sub_co_u32_e32 v9, vcc, v33, v9
	v_subb_co_u32_e32 v10, vcc, v36, v34, vcc
	s_branch .LBB31_496
.LBB31_499:
	s_or_b64 exec, exec, s[6:7]
	v_add_u32_e32 v5, 0x80000001, v9
	v_min_u32_e32 v5, v5, v9
	v_add_u32_e32 v6, 0x80000001, v5
	v_min_u32_e32 v6, v6, v5
.LBB31_500:
	s_or_b64 exec, exec, s[4:5]
	v_mov_b32_e32 v33, 0
	s_movk_i32 s6, 0x1388
	s_mov_b32 s7, 0xbc8f1391
	s_mov_b32 s8, 0xbc8f
	s_brev_b32 s9, 12
	s_mov_b32 s14, 0xf800000
	v_mov_b32_e32 v5, 0x260
.LBB31_501:                             ; =>This Inner Loop Header: Depth=1
	v_mul_hi_u32 v7, v6, s7
	v_add_f32_e32 v8, 1.0, v33
	s_add_i32 s6, s6, -2
	s_cmp_lg_u32 s6, 0
	v_lshrrev_b32_e32 v7, 15, v7
	v_mul_u32_u24_e32 v9, 0xadc8, v7
	v_sub_u32_e32 v6, v6, v9
	v_mul_lo_u32 v6, v6, s8
	v_mul_u32_u24_e32 v7, 0xd47, v7
	v_xor_b32_e32 v9, 0x7fffffff, v7
	v_sub_u32_e32 v10, 0, v7
	v_cmp_lt_u32_e32 vcc, v6, v7
	v_cndmask_b32_e32 v7, v10, v9, vcc
	v_add_u32_e32 v6, v7, v6
	v_mul_hi_u32 v9, v6, s7
	v_add_u32_e32 v7, -1, v6
	v_cvt_f32_u32_e32 v7, v7
	v_lshrrev_b32_e32 v9, 15, v9
	v_mul_u32_u24_e32 v10, 0xadc8, v9
	v_sub_u32_e32 v6, v6, v10
	v_mul_lo_u32 v6, v6, s8
	v_mul_u32_u24_e32 v9, 0xd47, v9
	v_xor_b32_e32 v10, 0x7fffffff, v9
	v_sub_u32_e32 v34, 0, v9
	v_cmp_lt_u32_e32 vcc, v6, v9
	v_cndmask_b32_e32 v9, v34, v10, vcc
	v_add_u32_e32 v6, v9, v6
	v_mul_hi_u32 v10, v6, s7
	v_add_u32_e32 v9, -1, v6
	v_cvt_f32_u32_e32 v9, v9
	v_fma_f32 v7, v7, s9, 0
	v_lshrrev_b32_e32 v10, 15, v10
	v_mul_u32_u24_e32 v34, 0xadc8, v10
	v_fma_f32 v9, v9, s9, 0
	v_sub_u32_e32 v6, v6, v34
	v_mul_f32_e32 v9, v9, v9
	v_mul_lo_u32 v6, v6, s8
	v_fmac_f32_e32 v9, v7, v7
	v_mul_f32_e32 v7, 0x4f800000, v9
	v_cmp_gt_f32_e32 vcc, s14, v9
	v_mul_u32_u24_e32 v10, 0xd47, v10
	v_cndmask_b32_e32 v7, v9, v7, vcc
	v_xor_b32_e32 v34, 0x7fffffff, v10
	v_sub_u32_e32 v35, 0, v10
	v_sqrt_f32_e32 v9, v7
	v_cmp_lt_u32_e64 s[4:5], v6, v10
	v_cndmask_b32_e64 v10, v35, v34, s[4:5]
	v_add_u32_e32 v6, v10, v6
	v_mul_hi_u32 v34, v6, s7
	v_add_u32_e32 v35, -1, v9
	v_add_u32_e32 v36, 1, v9
	v_fma_f32 v37, -v35, v9, v7
	v_fma_f32 v38, -v36, v9, v7
	v_cmp_ge_f32_e64 s[4:5], 0, v37
	v_cndmask_b32_e64 v9, v9, v35, s[4:5]
	v_cmp_lt_f32_e64 s[4:5], 0, v38
	v_lshrrev_b32_e32 v34, 15, v34
	v_cndmask_b32_e64 v9, v9, v36, s[4:5]
	v_mul_u32_u24_e32 v36, 0xadc8, v34
	v_add_u32_e32 v10, -1, v6
	v_sub_u32_e32 v6, v6, v36
	v_mul_f32_e32 v35, 0x37800000, v9
	v_mul_lo_u32 v6, v6, s8
	v_cndmask_b32_e32 v9, v9, v35, vcc
	v_cmp_class_f32_e32 vcc, v7, v5
	v_cndmask_b32_e32 v7, v9, v7, vcc
	v_mul_u32_u24_e32 v34, 0xd47, v34
	v_cmp_nge_f32_e32 vcc, 1.0, v7
	v_xor_b32_e32 v35, 0x7fffffff, v34
	v_sub_u32_e32 v36, 0, v34
	v_cndmask_b32_e32 v7, v8, v33, vcc
	v_cmp_lt_u32_e32 vcc, v6, v34
	v_cndmask_b32_e32 v9, v36, v35, vcc
	v_add_u32_e32 v6, v9, v6
	v_add_u32_e32 v9, -1, v6
	v_cvt_f32_u32_e32 v9, v9
	v_cvt_f32_u32_e32 v10, v10
	v_add_f32_e32 v8, 1.0, v7
	v_fma_f32 v9, v9, s9, 0
	v_fma_f32 v10, v10, s9, 0
	v_mul_f32_e32 v9, v9, v9
	v_fmac_f32_e32 v9, v10, v10
	v_mul_f32_e32 v10, 0x4f800000, v9
	v_cmp_gt_f32_e32 vcc, s14, v9
	v_cndmask_b32_e32 v9, v9, v10, vcc
	v_sqrt_f32_e32 v10, v9
	v_add_u32_e32 v33, -1, v10
	v_add_u32_e32 v34, 1, v10
	v_fma_f32 v35, -v33, v10, v9
	v_fma_f32 v36, -v34, v10, v9
	v_cmp_ge_f32_e64 s[4:5], 0, v35
	v_cndmask_b32_e64 v10, v10, v33, s[4:5]
	v_cmp_lt_f32_e64 s[4:5], 0, v36
	v_cndmask_b32_e64 v10, v10, v34, s[4:5]
	v_mul_f32_e32 v33, 0x37800000, v10
	v_cndmask_b32_e32 v10, v10, v33, vcc
	v_cmp_class_f32_e32 vcc, v9, v5
	v_cndmask_b32_e32 v9, v10, v9, vcc
	v_cmp_nge_f32_e32 vcc, 1.0, v9
	v_cndmask_b32_e32 v33, v8, v7, vcc
	s_cbranch_scc1 .LBB31_501
; %bb.502:
	v_add_u32_e32 v5, 0x19a2800, v4
	v_cmp_ne_u32_e32 vcc, 0, v5
	v_mov_b32_e32 v6, 1
	s_and_saveexec_b64 s[4:5], vcc
	s_cbranch_execz .LBB31_508
; %bb.503:
	v_mov_b32_e32 v6, 0
	v_mov_b32_e32 v9, 1
	;; [unrolled: 1-line block ×3, first 2 shown]
	s_mov_b64 s[8:9], 0xbc8f
	v_mov_b32_e32 v10, 0
	s_mov_b64 s[6:7], 0
	s_brev_b32 s17, -2
	v_mov_b32_e32 v7, v5
	s_branch .LBB31_505
.LBB31_504:                             ;   in Loop: Header=BB31_505 Depth=1
	s_or_b64 exec, exec, s[14:15]
	s_mul_i32 s9, s8, s9
	s_mul_hi_u32 s14, s8, s8
	s_add_i32 s14, s14, s9
	s_add_i32 s14, s14, s9
	s_mul_i32 s15, s8, s8
	s_mul_i32 s9, s14, 3
	s_mul_hi_u32 s18, s15, 3
	s_mul_hi_u32 s8, s14, 3
	s_add_u32 s9, s9, s18
	s_addc_u32 s8, s8, 0
	s_mul_i32 s19, s15, 0x80000001
	s_mul_hi_u32 s18, s15, 0x80000001
	s_add_u32 s9, s19, s9
	s_addc_u32 s9, s18, 0
	s_add_u32 s8, s8, s9
	s_addc_u32 s9, 0, 0
	s_mul_i32 s19, s14, 0x80000001
	s_mul_hi_u32 s18, s14, 0x80000001
	s_add_u32 s8, s19, s8
	s_addc_u32 s9, s18, s9
	s_lshr_b32 s18, s9, 30
	s_lshr_b64 s[8:9], s[8:9], 30
	s_mul_i32 s18, s18, 0x7fffffff
	s_mul_hi_u32 s9, s8, 0x7fffffff
	v_lshrrev_b64 v[34:35], 1, v[7:8]
	s_add_i32 s9, s9, s18
	s_mul_i32 s8, s8, 0x7fffffff
	s_sub_u32 s8, s15, s8
	v_cmp_gt_u64_e32 vcc, 2, v[7:8]
	s_subb_u32 s9, s14, s9
	v_mov_b32_e32 v7, v34
	s_or_b64 s[6:7], vcc, s[6:7]
	v_mov_b32_e32 v8, v35
	s_andn2_b64 exec, exec, s[6:7]
	s_cbranch_execz .LBB31_507
.LBB31_505:                             ; =>This Inner Loop Header: Depth=1
	v_and_b32_e32 v5, 1, v7
	v_cmp_eq_u32_e32 vcc, 1, v5
	s_and_saveexec_b64 s[14:15], vcc
	s_cbranch_execz .LBB31_504
; %bb.506:                              ;   in Loop: Header=BB31_505 Depth=1
	v_mad_u64_u32 v[34:35], s[18:19], s8, v9, 0
	v_mul_lo_u32 v9, s9, v9
	v_mul_lo_u32 v10, s8, v10
	v_mul_hi_u32 v5, v34, 5
	v_add3_u32 v37, v35, v10, v9
	v_mad_u64_u32 v[9:10], s[18:19], v37, 5, v[5:6]
	v_mov_b32_e32 v5, v9
	v_mad_u64_u32 v[35:36], s[18:19], v34, 2, v[5:6]
	v_add_co_u32_e32 v9, vcc, v10, v36
	v_addc_co_u32_e64 v10, s[18:19], 0, 0, vcc
	v_mad_u64_u32 v[9:10], s[18:19], v37, 2, v[9:10]
	v_sub_co_u32_e32 v35, vcc, v34, v9
	v_subb_co_u32_e32 v36, vcc, v37, v10, vcc
	v_lshrrev_b64 v[35:36], 1, v[35:36]
	v_add_co_u32_e32 v5, vcc, v35, v9
	v_addc_co_u32_e32 v35, vcc, v36, v10, vcc
	v_alignbit_b32 v5, v35, v5, 30
	v_mad_u64_u32 v[9:10], s[18:19], v5, s17, 0
	v_lshrrev_b32_e32 v35, 30, v35
	v_mov_b32_e32 v5, v10
	v_mad_u64_u32 v[35:36], s[18:19], v35, s17, v[5:6]
	v_sub_co_u32_e32 v9, vcc, v34, v9
	v_subb_co_u32_e32 v10, vcc, v37, v35, vcc
	s_branch .LBB31_504
.LBB31_507:
	s_or_b64 exec, exec, s[6:7]
	v_add_u32_e32 v5, 0x80000001, v9
	v_min_u32_e32 v5, v5, v9
	v_add_u32_e32 v6, 0x80000001, v5
	v_min_u32_e32 v6, v6, v5
.LBB31_508:
	s_or_b64 exec, exec, s[4:5]
	v_mov_b32_e32 v34, 0
	s_movk_i32 s6, 0x1388
	s_mov_b32 s7, 0xbc8f1391
	s_mov_b32 s8, 0xbc8f
	s_brev_b32 s9, 12
	s_mov_b32 s14, 0xf800000
	v_mov_b32_e32 v5, 0x260
.LBB31_509:                             ; =>This Inner Loop Header: Depth=1
	v_mul_hi_u32 v7, v6, s7
	v_add_f32_e32 v8, 1.0, v34
	s_add_i32 s6, s6, -2
	s_cmp_lg_u32 s6, 0
	v_lshrrev_b32_e32 v7, 15, v7
	v_mul_u32_u24_e32 v9, 0xadc8, v7
	v_sub_u32_e32 v6, v6, v9
	v_mul_lo_u32 v6, v6, s8
	v_mul_u32_u24_e32 v7, 0xd47, v7
	v_xor_b32_e32 v9, 0x7fffffff, v7
	v_sub_u32_e32 v10, 0, v7
	v_cmp_lt_u32_e32 vcc, v6, v7
	v_cndmask_b32_e32 v7, v10, v9, vcc
	v_add_u32_e32 v6, v7, v6
	v_mul_hi_u32 v9, v6, s7
	v_add_u32_e32 v7, -1, v6
	v_cvt_f32_u32_e32 v7, v7
	v_lshrrev_b32_e32 v9, 15, v9
	v_mul_u32_u24_e32 v10, 0xadc8, v9
	v_sub_u32_e32 v6, v6, v10
	v_mul_lo_u32 v6, v6, s8
	v_mul_u32_u24_e32 v9, 0xd47, v9
	v_xor_b32_e32 v10, 0x7fffffff, v9
	v_sub_u32_e32 v35, 0, v9
	v_cmp_lt_u32_e32 vcc, v6, v9
	v_cndmask_b32_e32 v9, v35, v10, vcc
	v_add_u32_e32 v6, v9, v6
	v_mul_hi_u32 v10, v6, s7
	v_add_u32_e32 v9, -1, v6
	v_cvt_f32_u32_e32 v9, v9
	v_fma_f32 v7, v7, s9, 0
	v_lshrrev_b32_e32 v10, 15, v10
	v_mul_u32_u24_e32 v35, 0xadc8, v10
	v_fma_f32 v9, v9, s9, 0
	v_sub_u32_e32 v6, v6, v35
	v_mul_f32_e32 v9, v9, v9
	v_mul_lo_u32 v6, v6, s8
	v_fmac_f32_e32 v9, v7, v7
	v_mul_f32_e32 v7, 0x4f800000, v9
	v_cmp_gt_f32_e32 vcc, s14, v9
	v_mul_u32_u24_e32 v10, 0xd47, v10
	v_cndmask_b32_e32 v7, v9, v7, vcc
	v_xor_b32_e32 v35, 0x7fffffff, v10
	v_sub_u32_e32 v36, 0, v10
	v_sqrt_f32_e32 v9, v7
	v_cmp_lt_u32_e64 s[4:5], v6, v10
	v_cndmask_b32_e64 v10, v36, v35, s[4:5]
	v_add_u32_e32 v6, v10, v6
	v_mul_hi_u32 v35, v6, s7
	v_add_u32_e32 v36, -1, v9
	v_add_u32_e32 v37, 1, v9
	v_fma_f32 v38, -v36, v9, v7
	v_fma_f32 v39, -v37, v9, v7
	v_cmp_ge_f32_e64 s[4:5], 0, v38
	v_cndmask_b32_e64 v9, v9, v36, s[4:5]
	v_cmp_lt_f32_e64 s[4:5], 0, v39
	v_lshrrev_b32_e32 v35, 15, v35
	v_cndmask_b32_e64 v9, v9, v37, s[4:5]
	v_mul_u32_u24_e32 v37, 0xadc8, v35
	v_add_u32_e32 v10, -1, v6
	v_sub_u32_e32 v6, v6, v37
	v_mul_f32_e32 v36, 0x37800000, v9
	v_mul_lo_u32 v6, v6, s8
	v_cndmask_b32_e32 v9, v9, v36, vcc
	v_cmp_class_f32_e32 vcc, v7, v5
	v_cndmask_b32_e32 v7, v9, v7, vcc
	v_mul_u32_u24_e32 v35, 0xd47, v35
	v_cmp_nge_f32_e32 vcc, 1.0, v7
	v_xor_b32_e32 v36, 0x7fffffff, v35
	v_sub_u32_e32 v37, 0, v35
	v_cndmask_b32_e32 v7, v8, v34, vcc
	v_cmp_lt_u32_e32 vcc, v6, v35
	v_cndmask_b32_e32 v9, v37, v36, vcc
	v_add_u32_e32 v6, v9, v6
	v_add_u32_e32 v9, -1, v6
	v_cvt_f32_u32_e32 v9, v9
	v_cvt_f32_u32_e32 v10, v10
	v_add_f32_e32 v8, 1.0, v7
	v_fma_f32 v9, v9, s9, 0
	v_fma_f32 v10, v10, s9, 0
	v_mul_f32_e32 v9, v9, v9
	v_fmac_f32_e32 v9, v10, v10
	v_mul_f32_e32 v10, 0x4f800000, v9
	v_cmp_gt_f32_e32 vcc, s14, v9
	v_cndmask_b32_e32 v9, v9, v10, vcc
	v_sqrt_f32_e32 v10, v9
	v_add_u32_e32 v34, -1, v10
	v_add_u32_e32 v35, 1, v10
	v_fma_f32 v36, -v34, v10, v9
	v_fma_f32 v37, -v35, v10, v9
	v_cmp_ge_f32_e64 s[4:5], 0, v36
	v_cndmask_b32_e64 v10, v10, v34, s[4:5]
	v_cmp_lt_f32_e64 s[4:5], 0, v37
	v_cndmask_b32_e64 v10, v10, v35, s[4:5]
	v_mul_f32_e32 v34, 0x37800000, v10
	v_cndmask_b32_e32 v10, v10, v34, vcc
	v_cmp_class_f32_e32 vcc, v9, v5
	v_cndmask_b32_e32 v9, v10, v9, vcc
	v_cmp_nge_f32_e32 vcc, 1.0, v9
	v_cndmask_b32_e32 v34, v8, v7, vcc
	s_cbranch_scc1 .LBB31_509
; %bb.510:
	v_add_u32_e32 v5, 0x1adb000, v4
	v_cmp_ne_u32_e32 vcc, 0, v5
	v_mov_b32_e32 v6, 1
	s_and_saveexec_b64 s[4:5], vcc
	s_cbranch_execz .LBB31_516
; %bb.511:
	v_mov_b32_e32 v6, 0
	v_mov_b32_e32 v9, 1
	;; [unrolled: 1-line block ×3, first 2 shown]
	s_mov_b64 s[8:9], 0xbc8f
	v_mov_b32_e32 v10, 0
	s_mov_b64 s[6:7], 0
	s_brev_b32 s17, -2
	v_mov_b32_e32 v7, v5
	s_branch .LBB31_513
.LBB31_512:                             ;   in Loop: Header=BB31_513 Depth=1
	s_or_b64 exec, exec, s[14:15]
	s_mul_i32 s9, s8, s9
	s_mul_hi_u32 s14, s8, s8
	s_add_i32 s14, s14, s9
	s_add_i32 s14, s14, s9
	s_mul_i32 s15, s8, s8
	s_mul_i32 s9, s14, 3
	s_mul_hi_u32 s18, s15, 3
	s_mul_hi_u32 s8, s14, 3
	s_add_u32 s9, s9, s18
	s_addc_u32 s8, s8, 0
	s_mul_i32 s19, s15, 0x80000001
	s_mul_hi_u32 s18, s15, 0x80000001
	s_add_u32 s9, s19, s9
	s_addc_u32 s9, s18, 0
	s_add_u32 s8, s8, s9
	s_addc_u32 s9, 0, 0
	s_mul_i32 s19, s14, 0x80000001
	s_mul_hi_u32 s18, s14, 0x80000001
	s_add_u32 s8, s19, s8
	s_addc_u32 s9, s18, s9
	s_lshr_b32 s18, s9, 30
	s_lshr_b64 s[8:9], s[8:9], 30
	s_mul_i32 s18, s18, 0x7fffffff
	s_mul_hi_u32 s9, s8, 0x7fffffff
	v_lshrrev_b64 v[35:36], 1, v[7:8]
	s_add_i32 s9, s9, s18
	s_mul_i32 s8, s8, 0x7fffffff
	s_sub_u32 s8, s15, s8
	v_cmp_gt_u64_e32 vcc, 2, v[7:8]
	s_subb_u32 s9, s14, s9
	v_mov_b32_e32 v7, v35
	s_or_b64 s[6:7], vcc, s[6:7]
	v_mov_b32_e32 v8, v36
	s_andn2_b64 exec, exec, s[6:7]
	s_cbranch_execz .LBB31_515
.LBB31_513:                             ; =>This Inner Loop Header: Depth=1
	v_and_b32_e32 v5, 1, v7
	v_cmp_eq_u32_e32 vcc, 1, v5
	s_and_saveexec_b64 s[14:15], vcc
	s_cbranch_execz .LBB31_512
; %bb.514:                              ;   in Loop: Header=BB31_513 Depth=1
	v_mad_u64_u32 v[35:36], s[18:19], s8, v9, 0
	v_mul_lo_u32 v9, s9, v9
	v_mul_lo_u32 v10, s8, v10
	v_mul_hi_u32 v5, v35, 5
	v_add3_u32 v38, v36, v10, v9
	v_mad_u64_u32 v[9:10], s[18:19], v38, 5, v[5:6]
	v_mov_b32_e32 v5, v9
	v_mad_u64_u32 v[36:37], s[18:19], v35, 2, v[5:6]
	v_add_co_u32_e32 v9, vcc, v10, v37
	v_addc_co_u32_e64 v10, s[18:19], 0, 0, vcc
	v_mad_u64_u32 v[9:10], s[18:19], v38, 2, v[9:10]
	v_sub_co_u32_e32 v36, vcc, v35, v9
	v_subb_co_u32_e32 v37, vcc, v38, v10, vcc
	v_lshrrev_b64 v[36:37], 1, v[36:37]
	v_add_co_u32_e32 v5, vcc, v36, v9
	v_addc_co_u32_e32 v36, vcc, v37, v10, vcc
	v_alignbit_b32 v5, v36, v5, 30
	v_mad_u64_u32 v[9:10], s[18:19], v5, s17, 0
	v_lshrrev_b32_e32 v36, 30, v36
	v_mov_b32_e32 v5, v10
	v_mad_u64_u32 v[36:37], s[18:19], v36, s17, v[5:6]
	v_sub_co_u32_e32 v9, vcc, v35, v9
	v_subb_co_u32_e32 v10, vcc, v38, v36, vcc
	s_branch .LBB31_512
.LBB31_515:
	s_or_b64 exec, exec, s[6:7]
	v_add_u32_e32 v5, 0x80000001, v9
	v_min_u32_e32 v5, v5, v9
	v_add_u32_e32 v6, 0x80000001, v5
	v_min_u32_e32 v6, v6, v5
.LBB31_516:
	s_or_b64 exec, exec, s[4:5]
	v_mov_b32_e32 v35, 0
	s_movk_i32 s6, 0x1388
	s_mov_b32 s7, 0xbc8f1391
	s_mov_b32 s8, 0xbc8f
	s_brev_b32 s9, 12
	s_mov_b32 s14, 0xf800000
	v_mov_b32_e32 v5, 0x260
.LBB31_517:                             ; =>This Inner Loop Header: Depth=1
	v_mul_hi_u32 v7, v6, s7
	v_add_f32_e32 v8, 1.0, v35
	s_add_i32 s6, s6, -2
	s_cmp_lg_u32 s6, 0
	v_lshrrev_b32_e32 v7, 15, v7
	v_mul_u32_u24_e32 v9, 0xadc8, v7
	v_sub_u32_e32 v6, v6, v9
	v_mul_lo_u32 v6, v6, s8
	v_mul_u32_u24_e32 v7, 0xd47, v7
	v_xor_b32_e32 v9, 0x7fffffff, v7
	v_sub_u32_e32 v10, 0, v7
	v_cmp_lt_u32_e32 vcc, v6, v7
	v_cndmask_b32_e32 v7, v10, v9, vcc
	v_add_u32_e32 v6, v7, v6
	v_mul_hi_u32 v9, v6, s7
	v_add_u32_e32 v7, -1, v6
	v_cvt_f32_u32_e32 v7, v7
	v_lshrrev_b32_e32 v9, 15, v9
	v_mul_u32_u24_e32 v10, 0xadc8, v9
	v_sub_u32_e32 v6, v6, v10
	v_mul_lo_u32 v6, v6, s8
	v_mul_u32_u24_e32 v9, 0xd47, v9
	v_xor_b32_e32 v10, 0x7fffffff, v9
	v_sub_u32_e32 v36, 0, v9
	v_cmp_lt_u32_e32 vcc, v6, v9
	v_cndmask_b32_e32 v9, v36, v10, vcc
	v_add_u32_e32 v6, v9, v6
	v_mul_hi_u32 v10, v6, s7
	v_add_u32_e32 v9, -1, v6
	v_cvt_f32_u32_e32 v9, v9
	v_fma_f32 v7, v7, s9, 0
	v_lshrrev_b32_e32 v10, 15, v10
	v_mul_u32_u24_e32 v36, 0xadc8, v10
	v_fma_f32 v9, v9, s9, 0
	v_sub_u32_e32 v6, v6, v36
	v_mul_f32_e32 v9, v9, v9
	v_mul_lo_u32 v6, v6, s8
	v_fmac_f32_e32 v9, v7, v7
	v_mul_f32_e32 v7, 0x4f800000, v9
	v_cmp_gt_f32_e32 vcc, s14, v9
	v_mul_u32_u24_e32 v10, 0xd47, v10
	v_cndmask_b32_e32 v7, v9, v7, vcc
	v_xor_b32_e32 v36, 0x7fffffff, v10
	v_sub_u32_e32 v37, 0, v10
	v_sqrt_f32_e32 v9, v7
	v_cmp_lt_u32_e64 s[4:5], v6, v10
	v_cndmask_b32_e64 v10, v37, v36, s[4:5]
	v_add_u32_e32 v6, v10, v6
	v_mul_hi_u32 v36, v6, s7
	v_add_u32_e32 v37, -1, v9
	v_add_u32_e32 v38, 1, v9
	v_fma_f32 v39, -v37, v9, v7
	v_fma_f32 v48, -v38, v9, v7
	v_cmp_ge_f32_e64 s[4:5], 0, v39
	v_cndmask_b32_e64 v9, v9, v37, s[4:5]
	v_cmp_lt_f32_e64 s[4:5], 0, v48
	v_lshrrev_b32_e32 v36, 15, v36
	v_cndmask_b32_e64 v9, v9, v38, s[4:5]
	v_mul_u32_u24_e32 v38, 0xadc8, v36
	v_add_u32_e32 v10, -1, v6
	v_sub_u32_e32 v6, v6, v38
	v_mul_f32_e32 v37, 0x37800000, v9
	v_mul_lo_u32 v6, v6, s8
	v_cndmask_b32_e32 v9, v9, v37, vcc
	v_cmp_class_f32_e32 vcc, v7, v5
	v_cndmask_b32_e32 v7, v9, v7, vcc
	v_mul_u32_u24_e32 v36, 0xd47, v36
	v_cmp_nge_f32_e32 vcc, 1.0, v7
	v_xor_b32_e32 v37, 0x7fffffff, v36
	v_sub_u32_e32 v38, 0, v36
	v_cndmask_b32_e32 v7, v8, v35, vcc
	v_cmp_lt_u32_e32 vcc, v6, v36
	v_cndmask_b32_e32 v9, v38, v37, vcc
	v_add_u32_e32 v6, v9, v6
	v_add_u32_e32 v9, -1, v6
	v_cvt_f32_u32_e32 v9, v9
	v_cvt_f32_u32_e32 v10, v10
	v_add_f32_e32 v8, 1.0, v7
	v_fma_f32 v9, v9, s9, 0
	v_fma_f32 v10, v10, s9, 0
	v_mul_f32_e32 v9, v9, v9
	v_fmac_f32_e32 v9, v10, v10
	v_mul_f32_e32 v10, 0x4f800000, v9
	v_cmp_gt_f32_e32 vcc, s14, v9
	v_cndmask_b32_e32 v9, v9, v10, vcc
	v_sqrt_f32_e32 v10, v9
	v_add_u32_e32 v35, -1, v10
	v_add_u32_e32 v36, 1, v10
	v_fma_f32 v37, -v35, v10, v9
	v_fma_f32 v38, -v36, v10, v9
	v_cmp_ge_f32_e64 s[4:5], 0, v37
	v_cndmask_b32_e64 v10, v10, v35, s[4:5]
	v_cmp_lt_f32_e64 s[4:5], 0, v38
	v_cndmask_b32_e64 v10, v10, v36, s[4:5]
	v_mul_f32_e32 v35, 0x37800000, v10
	v_cndmask_b32_e32 v10, v10, v35, vcc
	v_cmp_class_f32_e32 vcc, v9, v5
	v_cndmask_b32_e32 v9, v10, v9, vcc
	v_cmp_nge_f32_e32 vcc, 1.0, v9
	v_cndmask_b32_e32 v35, v8, v7, vcc
	s_cbranch_scc1 .LBB31_517
; %bb.518:
	v_add_u32_e32 v5, 0x1c13800, v4
	v_cmp_ne_u32_e32 vcc, 0, v5
	v_mov_b32_e32 v6, 1
	s_and_saveexec_b64 s[4:5], vcc
	s_cbranch_execz .LBB31_524
; %bb.519:
	v_mov_b32_e32 v6, 0
	v_mov_b32_e32 v9, 1
	;; [unrolled: 1-line block ×3, first 2 shown]
	s_mov_b64 s[8:9], 0xbc8f
	v_mov_b32_e32 v10, 0
	s_mov_b64 s[6:7], 0
	s_brev_b32 s17, -2
	v_mov_b32_e32 v7, v5
	s_branch .LBB31_521
.LBB31_520:                             ;   in Loop: Header=BB31_521 Depth=1
	s_or_b64 exec, exec, s[14:15]
	s_mul_i32 s9, s8, s9
	s_mul_hi_u32 s14, s8, s8
	s_add_i32 s14, s14, s9
	s_add_i32 s14, s14, s9
	s_mul_i32 s15, s8, s8
	s_mul_i32 s9, s14, 3
	s_mul_hi_u32 s18, s15, 3
	s_mul_hi_u32 s8, s14, 3
	s_add_u32 s9, s9, s18
	s_addc_u32 s8, s8, 0
	s_mul_i32 s19, s15, 0x80000001
	s_mul_hi_u32 s18, s15, 0x80000001
	s_add_u32 s9, s19, s9
	s_addc_u32 s9, s18, 0
	s_add_u32 s8, s8, s9
	s_addc_u32 s9, 0, 0
	s_mul_i32 s19, s14, 0x80000001
	s_mul_hi_u32 s18, s14, 0x80000001
	s_add_u32 s8, s19, s8
	s_addc_u32 s9, s18, s9
	s_lshr_b32 s18, s9, 30
	s_lshr_b64 s[8:9], s[8:9], 30
	s_mul_i32 s18, s18, 0x7fffffff
	s_mul_hi_u32 s9, s8, 0x7fffffff
	v_lshrrev_b64 v[36:37], 1, v[7:8]
	s_add_i32 s9, s9, s18
	s_mul_i32 s8, s8, 0x7fffffff
	s_sub_u32 s8, s15, s8
	v_cmp_gt_u64_e32 vcc, 2, v[7:8]
	s_subb_u32 s9, s14, s9
	v_mov_b32_e32 v7, v36
	s_or_b64 s[6:7], vcc, s[6:7]
	v_mov_b32_e32 v8, v37
	s_andn2_b64 exec, exec, s[6:7]
	s_cbranch_execz .LBB31_523
.LBB31_521:                             ; =>This Inner Loop Header: Depth=1
	v_and_b32_e32 v5, 1, v7
	v_cmp_eq_u32_e32 vcc, 1, v5
	s_and_saveexec_b64 s[14:15], vcc
	s_cbranch_execz .LBB31_520
; %bb.522:                              ;   in Loop: Header=BB31_521 Depth=1
	v_mad_u64_u32 v[36:37], s[18:19], s8, v9, 0
	v_mul_lo_u32 v9, s9, v9
	v_mul_lo_u32 v10, s8, v10
	v_mul_hi_u32 v5, v36, 5
	v_add3_u32 v39, v37, v10, v9
	v_mad_u64_u32 v[9:10], s[18:19], v39, 5, v[5:6]
	v_mov_b32_e32 v5, v9
	v_mad_u64_u32 v[37:38], s[18:19], v36, 2, v[5:6]
	v_add_co_u32_e32 v9, vcc, v10, v38
	v_addc_co_u32_e64 v10, s[18:19], 0, 0, vcc
	v_mad_u64_u32 v[9:10], s[18:19], v39, 2, v[9:10]
	v_sub_co_u32_e32 v37, vcc, v36, v9
	v_subb_co_u32_e32 v38, vcc, v39, v10, vcc
	v_lshrrev_b64 v[37:38], 1, v[37:38]
	v_add_co_u32_e32 v5, vcc, v37, v9
	v_addc_co_u32_e32 v37, vcc, v38, v10, vcc
	v_alignbit_b32 v5, v37, v5, 30
	v_mad_u64_u32 v[9:10], s[18:19], v5, s17, 0
	v_lshrrev_b32_e32 v37, 30, v37
	v_mov_b32_e32 v5, v10
	v_mad_u64_u32 v[37:38], s[18:19], v37, s17, v[5:6]
	v_sub_co_u32_e32 v9, vcc, v36, v9
	v_subb_co_u32_e32 v10, vcc, v39, v37, vcc
	s_branch .LBB31_520
.LBB31_523:
	s_or_b64 exec, exec, s[6:7]
	v_add_u32_e32 v5, 0x80000001, v9
	v_min_u32_e32 v5, v5, v9
	v_add_u32_e32 v6, 0x80000001, v5
	v_min_u32_e32 v6, v6, v5
.LBB31_524:
	s_or_b64 exec, exec, s[4:5]
	v_mov_b32_e32 v36, 0
	s_movk_i32 s6, 0x1388
	s_mov_b32 s7, 0xbc8f1391
	s_mov_b32 s8, 0xbc8f
	s_brev_b32 s9, 12
	s_mov_b32 s14, 0xf800000
	v_mov_b32_e32 v5, 0x260
.LBB31_525:                             ; =>This Inner Loop Header: Depth=1
	v_mul_hi_u32 v7, v6, s7
	v_add_f32_e32 v8, 1.0, v36
	s_add_i32 s6, s6, -2
	s_cmp_lg_u32 s6, 0
	v_lshrrev_b32_e32 v7, 15, v7
	v_mul_u32_u24_e32 v9, 0xadc8, v7
	v_sub_u32_e32 v6, v6, v9
	v_mul_lo_u32 v6, v6, s8
	v_mul_u32_u24_e32 v7, 0xd47, v7
	v_xor_b32_e32 v9, 0x7fffffff, v7
	v_sub_u32_e32 v10, 0, v7
	v_cmp_lt_u32_e32 vcc, v6, v7
	v_cndmask_b32_e32 v7, v10, v9, vcc
	v_add_u32_e32 v6, v7, v6
	v_mul_hi_u32 v9, v6, s7
	v_add_u32_e32 v7, -1, v6
	v_cvt_f32_u32_e32 v7, v7
	v_lshrrev_b32_e32 v9, 15, v9
	v_mul_u32_u24_e32 v10, 0xadc8, v9
	v_sub_u32_e32 v6, v6, v10
	v_mul_lo_u32 v6, v6, s8
	v_mul_u32_u24_e32 v9, 0xd47, v9
	v_xor_b32_e32 v10, 0x7fffffff, v9
	v_sub_u32_e32 v37, 0, v9
	v_cmp_lt_u32_e32 vcc, v6, v9
	v_cndmask_b32_e32 v9, v37, v10, vcc
	v_add_u32_e32 v6, v9, v6
	v_mul_hi_u32 v10, v6, s7
	v_add_u32_e32 v9, -1, v6
	v_cvt_f32_u32_e32 v9, v9
	v_fma_f32 v7, v7, s9, 0
	v_lshrrev_b32_e32 v10, 15, v10
	v_mul_u32_u24_e32 v37, 0xadc8, v10
	v_fma_f32 v9, v9, s9, 0
	v_sub_u32_e32 v6, v6, v37
	v_mul_f32_e32 v9, v9, v9
	v_mul_lo_u32 v6, v6, s8
	v_fmac_f32_e32 v9, v7, v7
	v_mul_f32_e32 v7, 0x4f800000, v9
	v_cmp_gt_f32_e32 vcc, s14, v9
	v_mul_u32_u24_e32 v10, 0xd47, v10
	v_cndmask_b32_e32 v7, v9, v7, vcc
	v_xor_b32_e32 v37, 0x7fffffff, v10
	v_sub_u32_e32 v38, 0, v10
	v_sqrt_f32_e32 v9, v7
	v_cmp_lt_u32_e64 s[4:5], v6, v10
	v_cndmask_b32_e64 v10, v38, v37, s[4:5]
	v_add_u32_e32 v6, v10, v6
	v_mul_hi_u32 v37, v6, s7
	v_add_u32_e32 v38, -1, v9
	v_add_u32_e32 v39, 1, v9
	v_fma_f32 v48, -v38, v9, v7
	v_fma_f32 v49, -v39, v9, v7
	v_cmp_ge_f32_e64 s[4:5], 0, v48
	v_cndmask_b32_e64 v9, v9, v38, s[4:5]
	v_cmp_lt_f32_e64 s[4:5], 0, v49
	v_lshrrev_b32_e32 v37, 15, v37
	v_cndmask_b32_e64 v9, v9, v39, s[4:5]
	v_mul_u32_u24_e32 v39, 0xadc8, v37
	v_add_u32_e32 v10, -1, v6
	v_sub_u32_e32 v6, v6, v39
	v_mul_f32_e32 v38, 0x37800000, v9
	v_mul_lo_u32 v6, v6, s8
	v_cndmask_b32_e32 v9, v9, v38, vcc
	v_cmp_class_f32_e32 vcc, v7, v5
	v_cndmask_b32_e32 v7, v9, v7, vcc
	v_mul_u32_u24_e32 v37, 0xd47, v37
	v_cmp_nge_f32_e32 vcc, 1.0, v7
	v_xor_b32_e32 v38, 0x7fffffff, v37
	v_sub_u32_e32 v39, 0, v37
	v_cndmask_b32_e32 v7, v8, v36, vcc
	v_cmp_lt_u32_e32 vcc, v6, v37
	v_cndmask_b32_e32 v9, v39, v38, vcc
	v_add_u32_e32 v6, v9, v6
	v_add_u32_e32 v9, -1, v6
	v_cvt_f32_u32_e32 v9, v9
	v_cvt_f32_u32_e32 v10, v10
	v_add_f32_e32 v8, 1.0, v7
	v_fma_f32 v9, v9, s9, 0
	v_fma_f32 v10, v10, s9, 0
	v_mul_f32_e32 v9, v9, v9
	v_fmac_f32_e32 v9, v10, v10
	v_mul_f32_e32 v10, 0x4f800000, v9
	v_cmp_gt_f32_e32 vcc, s14, v9
	v_cndmask_b32_e32 v9, v9, v10, vcc
	v_sqrt_f32_e32 v10, v9
	v_add_u32_e32 v36, -1, v10
	v_add_u32_e32 v37, 1, v10
	v_fma_f32 v38, -v36, v10, v9
	v_fma_f32 v39, -v37, v10, v9
	v_cmp_ge_f32_e64 s[4:5], 0, v38
	v_cndmask_b32_e64 v10, v10, v36, s[4:5]
	v_cmp_lt_f32_e64 s[4:5], 0, v39
	v_cndmask_b32_e64 v10, v10, v37, s[4:5]
	v_mul_f32_e32 v36, 0x37800000, v10
	v_cndmask_b32_e32 v10, v10, v36, vcc
	v_cmp_class_f32_e32 vcc, v9, v5
	v_cndmask_b32_e32 v9, v10, v9, vcc
	v_cmp_nge_f32_e32 vcc, 1.0, v9
	v_cndmask_b32_e32 v36, v8, v7, vcc
	s_cbranch_scc1 .LBB31_525
; %bb.526:
	v_add_u32_e32 v5, 0x1d4c000, v4
	v_cmp_ne_u32_e32 vcc, 0, v5
	v_mov_b32_e32 v6, 1
	s_and_saveexec_b64 s[4:5], vcc
	s_cbranch_execz .LBB31_532
; %bb.527:
	v_mov_b32_e32 v6, 0
	v_mov_b32_e32 v9, 1
	;; [unrolled: 1-line block ×3, first 2 shown]
	s_mov_b64 s[8:9], 0xbc8f
	v_mov_b32_e32 v10, 0
	s_mov_b64 s[6:7], 0
	s_brev_b32 s17, -2
	v_mov_b32_e32 v7, v5
	s_branch .LBB31_529
.LBB31_528:                             ;   in Loop: Header=BB31_529 Depth=1
	s_or_b64 exec, exec, s[14:15]
	s_mul_i32 s9, s8, s9
	s_mul_hi_u32 s14, s8, s8
	s_add_i32 s14, s14, s9
	s_add_i32 s14, s14, s9
	s_mul_i32 s15, s8, s8
	s_mul_i32 s9, s14, 3
	s_mul_hi_u32 s18, s15, 3
	s_mul_hi_u32 s8, s14, 3
	s_add_u32 s9, s9, s18
	s_addc_u32 s8, s8, 0
	s_mul_i32 s19, s15, 0x80000001
	s_mul_hi_u32 s18, s15, 0x80000001
	s_add_u32 s9, s19, s9
	s_addc_u32 s9, s18, 0
	s_add_u32 s8, s8, s9
	s_addc_u32 s9, 0, 0
	s_mul_i32 s19, s14, 0x80000001
	s_mul_hi_u32 s18, s14, 0x80000001
	s_add_u32 s8, s19, s8
	s_addc_u32 s9, s18, s9
	s_lshr_b32 s18, s9, 30
	s_lshr_b64 s[8:9], s[8:9], 30
	s_mul_i32 s18, s18, 0x7fffffff
	s_mul_hi_u32 s9, s8, 0x7fffffff
	v_lshrrev_b64 v[37:38], 1, v[7:8]
	s_add_i32 s9, s9, s18
	s_mul_i32 s8, s8, 0x7fffffff
	s_sub_u32 s8, s15, s8
	v_cmp_gt_u64_e32 vcc, 2, v[7:8]
	s_subb_u32 s9, s14, s9
	v_mov_b32_e32 v7, v37
	s_or_b64 s[6:7], vcc, s[6:7]
	v_mov_b32_e32 v8, v38
	s_andn2_b64 exec, exec, s[6:7]
	s_cbranch_execz .LBB31_531
.LBB31_529:                             ; =>This Inner Loop Header: Depth=1
	v_and_b32_e32 v5, 1, v7
	v_cmp_eq_u32_e32 vcc, 1, v5
	s_and_saveexec_b64 s[14:15], vcc
	s_cbranch_execz .LBB31_528
; %bb.530:                              ;   in Loop: Header=BB31_529 Depth=1
	v_mad_u64_u32 v[37:38], s[18:19], s8, v9, 0
	v_mul_lo_u32 v9, s9, v9
	v_mul_lo_u32 v10, s8, v10
	v_mul_hi_u32 v5, v37, 5
	v_add3_u32 v48, v38, v10, v9
	v_mad_u64_u32 v[9:10], s[18:19], v48, 5, v[5:6]
	v_mov_b32_e32 v5, v9
	v_mad_u64_u32 v[38:39], s[18:19], v37, 2, v[5:6]
	v_add_co_u32_e32 v9, vcc, v10, v39
	v_addc_co_u32_e64 v10, s[18:19], 0, 0, vcc
	v_mad_u64_u32 v[9:10], s[18:19], v48, 2, v[9:10]
	v_sub_co_u32_e32 v38, vcc, v37, v9
	v_subb_co_u32_e32 v39, vcc, v48, v10, vcc
	v_lshrrev_b64 v[38:39], 1, v[38:39]
	v_add_co_u32_e32 v5, vcc, v38, v9
	v_addc_co_u32_e32 v38, vcc, v39, v10, vcc
	v_alignbit_b32 v5, v38, v5, 30
	v_mad_u64_u32 v[9:10], s[18:19], v5, s17, 0
	v_lshrrev_b32_e32 v38, 30, v38
	v_mov_b32_e32 v5, v10
	v_mad_u64_u32 v[38:39], s[18:19], v38, s17, v[5:6]
	v_sub_co_u32_e32 v9, vcc, v37, v9
	v_subb_co_u32_e32 v10, vcc, v48, v38, vcc
	s_branch .LBB31_528
.LBB31_531:
	s_or_b64 exec, exec, s[6:7]
	v_add_u32_e32 v5, 0x80000001, v9
	v_min_u32_e32 v5, v5, v9
	v_add_u32_e32 v6, 0x80000001, v5
	v_min_u32_e32 v6, v6, v5
.LBB31_532:
	s_or_b64 exec, exec, s[4:5]
	v_mov_b32_e32 v37, 0
	s_movk_i32 s6, 0x1388
	s_mov_b32 s7, 0xbc8f1391
	s_mov_b32 s8, 0xbc8f
	s_brev_b32 s9, 12
	s_mov_b32 s14, 0xf800000
	v_mov_b32_e32 v5, 0x260
.LBB31_533:                             ; =>This Inner Loop Header: Depth=1
	v_mul_hi_u32 v7, v6, s7
	v_add_f32_e32 v8, 1.0, v37
	s_add_i32 s6, s6, -2
	s_cmp_lg_u32 s6, 0
	v_lshrrev_b32_e32 v7, 15, v7
	v_mul_u32_u24_e32 v9, 0xadc8, v7
	v_sub_u32_e32 v6, v6, v9
	v_mul_lo_u32 v6, v6, s8
	v_mul_u32_u24_e32 v7, 0xd47, v7
	v_xor_b32_e32 v9, 0x7fffffff, v7
	v_sub_u32_e32 v10, 0, v7
	v_cmp_lt_u32_e32 vcc, v6, v7
	v_cndmask_b32_e32 v7, v10, v9, vcc
	v_add_u32_e32 v6, v7, v6
	v_mul_hi_u32 v9, v6, s7
	v_add_u32_e32 v7, -1, v6
	v_cvt_f32_u32_e32 v7, v7
	v_lshrrev_b32_e32 v9, 15, v9
	v_mul_u32_u24_e32 v10, 0xadc8, v9
	v_sub_u32_e32 v6, v6, v10
	v_mul_lo_u32 v6, v6, s8
	v_mul_u32_u24_e32 v9, 0xd47, v9
	v_xor_b32_e32 v10, 0x7fffffff, v9
	v_sub_u32_e32 v38, 0, v9
	v_cmp_lt_u32_e32 vcc, v6, v9
	v_cndmask_b32_e32 v9, v38, v10, vcc
	v_add_u32_e32 v6, v9, v6
	v_mul_hi_u32 v10, v6, s7
	v_add_u32_e32 v9, -1, v6
	v_cvt_f32_u32_e32 v9, v9
	v_fma_f32 v7, v7, s9, 0
	v_lshrrev_b32_e32 v10, 15, v10
	v_mul_u32_u24_e32 v38, 0xadc8, v10
	v_fma_f32 v9, v9, s9, 0
	v_sub_u32_e32 v6, v6, v38
	v_mul_f32_e32 v9, v9, v9
	v_mul_lo_u32 v6, v6, s8
	v_fmac_f32_e32 v9, v7, v7
	v_mul_f32_e32 v7, 0x4f800000, v9
	v_cmp_gt_f32_e32 vcc, s14, v9
	v_mul_u32_u24_e32 v10, 0xd47, v10
	v_cndmask_b32_e32 v7, v9, v7, vcc
	v_xor_b32_e32 v38, 0x7fffffff, v10
	v_sub_u32_e32 v39, 0, v10
	v_sqrt_f32_e32 v9, v7
	v_cmp_lt_u32_e64 s[4:5], v6, v10
	v_cndmask_b32_e64 v10, v39, v38, s[4:5]
	v_add_u32_e32 v6, v10, v6
	v_mul_hi_u32 v38, v6, s7
	v_add_u32_e32 v39, -1, v9
	v_add_u32_e32 v48, 1, v9
	v_fma_f32 v49, -v39, v9, v7
	v_fma_f32 v50, -v48, v9, v7
	v_cmp_ge_f32_e64 s[4:5], 0, v49
	v_cndmask_b32_e64 v9, v9, v39, s[4:5]
	v_cmp_lt_f32_e64 s[4:5], 0, v50
	v_lshrrev_b32_e32 v38, 15, v38
	v_cndmask_b32_e64 v9, v9, v48, s[4:5]
	v_mul_u32_u24_e32 v48, 0xadc8, v38
	v_add_u32_e32 v10, -1, v6
	v_sub_u32_e32 v6, v6, v48
	v_mul_f32_e32 v39, 0x37800000, v9
	v_mul_lo_u32 v6, v6, s8
	v_cndmask_b32_e32 v9, v9, v39, vcc
	v_cmp_class_f32_e32 vcc, v7, v5
	v_cndmask_b32_e32 v7, v9, v7, vcc
	v_mul_u32_u24_e32 v38, 0xd47, v38
	v_cmp_nge_f32_e32 vcc, 1.0, v7
	v_xor_b32_e32 v39, 0x7fffffff, v38
	v_sub_u32_e32 v48, 0, v38
	v_cndmask_b32_e32 v7, v8, v37, vcc
	v_cmp_lt_u32_e32 vcc, v6, v38
	v_cndmask_b32_e32 v9, v48, v39, vcc
	v_add_u32_e32 v6, v9, v6
	v_add_u32_e32 v9, -1, v6
	v_cvt_f32_u32_e32 v9, v9
	v_cvt_f32_u32_e32 v10, v10
	v_add_f32_e32 v8, 1.0, v7
	v_fma_f32 v9, v9, s9, 0
	v_fma_f32 v10, v10, s9, 0
	v_mul_f32_e32 v9, v9, v9
	v_fmac_f32_e32 v9, v10, v10
	v_mul_f32_e32 v10, 0x4f800000, v9
	v_cmp_gt_f32_e32 vcc, s14, v9
	v_cndmask_b32_e32 v9, v9, v10, vcc
	v_sqrt_f32_e32 v10, v9
	v_add_u32_e32 v37, -1, v10
	v_add_u32_e32 v38, 1, v10
	v_fma_f32 v39, -v37, v10, v9
	v_fma_f32 v48, -v38, v10, v9
	v_cmp_ge_f32_e64 s[4:5], 0, v39
	v_cndmask_b32_e64 v10, v10, v37, s[4:5]
	v_cmp_lt_f32_e64 s[4:5], 0, v48
	v_cndmask_b32_e64 v10, v10, v38, s[4:5]
	v_mul_f32_e32 v37, 0x37800000, v10
	v_cndmask_b32_e32 v10, v10, v37, vcc
	v_cmp_class_f32_e32 vcc, v9, v5
	v_cndmask_b32_e32 v9, v10, v9, vcc
	v_cmp_nge_f32_e32 vcc, 1.0, v9
	v_cndmask_b32_e32 v37, v8, v7, vcc
	s_cbranch_scc1 .LBB31_533
; %bb.534:
	v_add_u32_e32 v5, 0x1e84800, v4
	v_cmp_ne_u32_e32 vcc, 0, v5
	v_mov_b32_e32 v6, 1
	s_and_saveexec_b64 s[4:5], vcc
	s_cbranch_execz .LBB31_540
; %bb.535:
	v_mov_b32_e32 v6, 0
	v_mov_b32_e32 v9, 1
	;; [unrolled: 1-line block ×3, first 2 shown]
	s_mov_b64 s[8:9], 0xbc8f
	v_mov_b32_e32 v10, 0
	s_mov_b64 s[6:7], 0
	s_brev_b32 s17, -2
	v_mov_b32_e32 v7, v5
	s_branch .LBB31_537
.LBB31_536:                             ;   in Loop: Header=BB31_537 Depth=1
	s_or_b64 exec, exec, s[14:15]
	s_mul_i32 s9, s8, s9
	s_mul_hi_u32 s14, s8, s8
	s_add_i32 s14, s14, s9
	s_add_i32 s14, s14, s9
	s_mul_i32 s15, s8, s8
	s_mul_i32 s9, s14, 3
	s_mul_hi_u32 s18, s15, 3
	s_mul_hi_u32 s8, s14, 3
	s_add_u32 s9, s9, s18
	s_addc_u32 s8, s8, 0
	s_mul_i32 s19, s15, 0x80000001
	s_mul_hi_u32 s18, s15, 0x80000001
	s_add_u32 s9, s19, s9
	s_addc_u32 s9, s18, 0
	s_add_u32 s8, s8, s9
	s_addc_u32 s9, 0, 0
	s_mul_i32 s19, s14, 0x80000001
	s_mul_hi_u32 s18, s14, 0x80000001
	s_add_u32 s8, s19, s8
	s_addc_u32 s9, s18, s9
	s_lshr_b32 s18, s9, 30
	s_lshr_b64 s[8:9], s[8:9], 30
	s_mul_i32 s18, s18, 0x7fffffff
	s_mul_hi_u32 s9, s8, 0x7fffffff
	v_lshrrev_b64 v[38:39], 1, v[7:8]
	s_add_i32 s9, s9, s18
	s_mul_i32 s8, s8, 0x7fffffff
	s_sub_u32 s8, s15, s8
	v_cmp_gt_u64_e32 vcc, 2, v[7:8]
	s_subb_u32 s9, s14, s9
	v_mov_b32_e32 v7, v38
	s_or_b64 s[6:7], vcc, s[6:7]
	v_mov_b32_e32 v8, v39
	s_andn2_b64 exec, exec, s[6:7]
	s_cbranch_execz .LBB31_539
.LBB31_537:                             ; =>This Inner Loop Header: Depth=1
	v_and_b32_e32 v5, 1, v7
	v_cmp_eq_u32_e32 vcc, 1, v5
	s_and_saveexec_b64 s[14:15], vcc
	s_cbranch_execz .LBB31_536
; %bb.538:                              ;   in Loop: Header=BB31_537 Depth=1
	v_mad_u64_u32 v[38:39], s[18:19], s8, v9, 0
	v_mul_lo_u32 v9, s9, v9
	v_mul_lo_u32 v10, s8, v10
	v_mul_hi_u32 v5, v38, 5
	v_add3_u32 v39, v39, v10, v9
	v_mad_u64_u32 v[9:10], s[18:19], v39, 5, v[5:6]
	v_mov_b32_e32 v5, v9
	v_mad_u64_u32 v[48:49], s[18:19], v38, 2, v[5:6]
	v_add_co_u32_e32 v9, vcc, v10, v49
	v_addc_co_u32_e64 v10, s[18:19], 0, 0, vcc
	v_mad_u64_u32 v[9:10], s[18:19], v39, 2, v[9:10]
	v_sub_co_u32_e32 v48, vcc, v38, v9
	v_subb_co_u32_e32 v49, vcc, v39, v10, vcc
	v_lshrrev_b64 v[48:49], 1, v[48:49]
	v_add_co_u32_e32 v5, vcc, v48, v9
	v_addc_co_u32_e32 v48, vcc, v49, v10, vcc
	v_alignbit_b32 v5, v48, v5, 30
	v_mad_u64_u32 v[9:10], s[18:19], v5, s17, 0
	v_lshrrev_b32_e32 v48, 30, v48
	v_mov_b32_e32 v5, v10
	v_mad_u64_u32 v[48:49], s[18:19], v48, s17, v[5:6]
	v_sub_co_u32_e32 v9, vcc, v38, v9
	v_subb_co_u32_e32 v10, vcc, v39, v48, vcc
	s_branch .LBB31_536
.LBB31_539:
	s_or_b64 exec, exec, s[6:7]
	v_add_u32_e32 v5, 0x80000001, v9
	v_min_u32_e32 v5, v5, v9
	v_add_u32_e32 v6, 0x80000001, v5
	v_min_u32_e32 v6, v6, v5
.LBB31_540:
	s_or_b64 exec, exec, s[4:5]
	v_mov_b32_e32 v38, 0
	s_movk_i32 s6, 0x1388
	s_mov_b32 s7, 0xbc8f1391
	s_mov_b32 s8, 0xbc8f
	s_brev_b32 s9, 12
	s_mov_b32 s14, 0xf800000
	v_mov_b32_e32 v5, 0x260
.LBB31_541:                             ; =>This Inner Loop Header: Depth=1
	v_mul_hi_u32 v7, v6, s7
	v_add_f32_e32 v8, 1.0, v38
	s_add_i32 s6, s6, -2
	s_cmp_lg_u32 s6, 0
	v_lshrrev_b32_e32 v7, 15, v7
	v_mul_u32_u24_e32 v9, 0xadc8, v7
	v_sub_u32_e32 v6, v6, v9
	v_mul_lo_u32 v6, v6, s8
	v_mul_u32_u24_e32 v7, 0xd47, v7
	v_xor_b32_e32 v9, 0x7fffffff, v7
	v_sub_u32_e32 v10, 0, v7
	v_cmp_lt_u32_e32 vcc, v6, v7
	v_cndmask_b32_e32 v7, v10, v9, vcc
	v_add_u32_e32 v6, v7, v6
	v_mul_hi_u32 v9, v6, s7
	v_add_u32_e32 v7, -1, v6
	v_cvt_f32_u32_e32 v7, v7
	v_lshrrev_b32_e32 v9, 15, v9
	v_mul_u32_u24_e32 v10, 0xadc8, v9
	v_sub_u32_e32 v6, v6, v10
	v_mul_lo_u32 v6, v6, s8
	v_mul_u32_u24_e32 v9, 0xd47, v9
	v_xor_b32_e32 v10, 0x7fffffff, v9
	v_sub_u32_e32 v39, 0, v9
	v_cmp_lt_u32_e32 vcc, v6, v9
	v_cndmask_b32_e32 v9, v39, v10, vcc
	v_add_u32_e32 v6, v9, v6
	v_mul_hi_u32 v10, v6, s7
	v_add_u32_e32 v9, -1, v6
	v_cvt_f32_u32_e32 v9, v9
	v_fma_f32 v7, v7, s9, 0
	v_lshrrev_b32_e32 v10, 15, v10
	v_mul_u32_u24_e32 v39, 0xadc8, v10
	v_fma_f32 v9, v9, s9, 0
	v_sub_u32_e32 v6, v6, v39
	v_mul_f32_e32 v9, v9, v9
	v_mul_lo_u32 v6, v6, s8
	v_fmac_f32_e32 v9, v7, v7
	v_mul_f32_e32 v7, 0x4f800000, v9
	v_cmp_gt_f32_e32 vcc, s14, v9
	v_mul_u32_u24_e32 v10, 0xd47, v10
	v_cndmask_b32_e32 v7, v9, v7, vcc
	v_xor_b32_e32 v39, 0x7fffffff, v10
	v_sub_u32_e32 v48, 0, v10
	v_sqrt_f32_e32 v9, v7
	v_cmp_lt_u32_e64 s[4:5], v6, v10
	v_cndmask_b32_e64 v10, v48, v39, s[4:5]
	v_add_u32_e32 v6, v10, v6
	v_mul_hi_u32 v39, v6, s7
	v_add_u32_e32 v48, -1, v9
	v_add_u32_e32 v49, 1, v9
	v_fma_f32 v50, -v48, v9, v7
	v_fma_f32 v51, -v49, v9, v7
	v_cmp_ge_f32_e64 s[4:5], 0, v50
	v_cndmask_b32_e64 v9, v9, v48, s[4:5]
	v_cmp_lt_f32_e64 s[4:5], 0, v51
	v_lshrrev_b32_e32 v39, 15, v39
	v_cndmask_b32_e64 v9, v9, v49, s[4:5]
	v_mul_u32_u24_e32 v49, 0xadc8, v39
	v_add_u32_e32 v10, -1, v6
	v_sub_u32_e32 v6, v6, v49
	v_mul_f32_e32 v48, 0x37800000, v9
	v_mul_lo_u32 v6, v6, s8
	v_cndmask_b32_e32 v9, v9, v48, vcc
	v_cmp_class_f32_e32 vcc, v7, v5
	v_cndmask_b32_e32 v7, v9, v7, vcc
	v_mul_u32_u24_e32 v39, 0xd47, v39
	v_cmp_nge_f32_e32 vcc, 1.0, v7
	v_xor_b32_e32 v48, 0x7fffffff, v39
	v_sub_u32_e32 v49, 0, v39
	v_cndmask_b32_e32 v7, v8, v38, vcc
	v_cmp_lt_u32_e32 vcc, v6, v39
	v_cndmask_b32_e32 v9, v49, v48, vcc
	v_add_u32_e32 v6, v9, v6
	v_add_u32_e32 v9, -1, v6
	v_cvt_f32_u32_e32 v9, v9
	v_cvt_f32_u32_e32 v10, v10
	v_add_f32_e32 v8, 1.0, v7
	v_fma_f32 v9, v9, s9, 0
	v_fma_f32 v10, v10, s9, 0
	v_mul_f32_e32 v9, v9, v9
	v_fmac_f32_e32 v9, v10, v10
	v_mul_f32_e32 v10, 0x4f800000, v9
	v_cmp_gt_f32_e32 vcc, s14, v9
	v_cndmask_b32_e32 v9, v9, v10, vcc
	v_sqrt_f32_e32 v10, v9
	v_add_u32_e32 v38, -1, v10
	v_add_u32_e32 v39, 1, v10
	v_fma_f32 v48, -v38, v10, v9
	v_fma_f32 v49, -v39, v10, v9
	v_cmp_ge_f32_e64 s[4:5], 0, v48
	v_cndmask_b32_e64 v10, v10, v38, s[4:5]
	v_cmp_lt_f32_e64 s[4:5], 0, v49
	v_cndmask_b32_e64 v10, v10, v39, s[4:5]
	v_mul_f32_e32 v38, 0x37800000, v10
	v_cndmask_b32_e32 v10, v10, v38, vcc
	v_cmp_class_f32_e32 vcc, v9, v5
	v_cndmask_b32_e32 v9, v10, v9, vcc
	v_cmp_nge_f32_e32 vcc, 1.0, v9
	v_cndmask_b32_e32 v38, v8, v7, vcc
	s_cbranch_scc1 .LBB31_541
; %bb.542:
	v_add_u32_e32 v5, 0x1fbd000, v4
	v_cmp_ne_u32_e32 vcc, 0, v5
	v_mov_b32_e32 v6, 1
	s_and_saveexec_b64 s[4:5], vcc
	s_cbranch_execz .LBB31_548
; %bb.543:
	v_mov_b32_e32 v6, 0
	v_mov_b32_e32 v9, 1
	;; [unrolled: 1-line block ×3, first 2 shown]
	s_mov_b64 s[8:9], 0xbc8f
	v_mov_b32_e32 v10, 0
	s_mov_b64 s[6:7], 0
	s_brev_b32 s17, -2
	v_mov_b32_e32 v7, v5
	s_branch .LBB31_545
.LBB31_544:                             ;   in Loop: Header=BB31_545 Depth=1
	s_or_b64 exec, exec, s[14:15]
	s_mul_i32 s9, s8, s9
	s_mul_hi_u32 s14, s8, s8
	s_add_i32 s14, s14, s9
	s_add_i32 s14, s14, s9
	s_mul_i32 s15, s8, s8
	s_mul_i32 s9, s14, 3
	s_mul_hi_u32 s18, s15, 3
	s_mul_hi_u32 s8, s14, 3
	s_add_u32 s9, s9, s18
	s_addc_u32 s8, s8, 0
	s_mul_i32 s19, s15, 0x80000001
	s_mul_hi_u32 s18, s15, 0x80000001
	s_add_u32 s9, s19, s9
	s_addc_u32 s9, s18, 0
	s_add_u32 s8, s8, s9
	s_addc_u32 s9, 0, 0
	s_mul_i32 s19, s14, 0x80000001
	s_mul_hi_u32 s18, s14, 0x80000001
	s_add_u32 s8, s19, s8
	s_addc_u32 s9, s18, s9
	s_lshr_b32 s18, s9, 30
	s_lshr_b64 s[8:9], s[8:9], 30
	s_mul_i32 s18, s18, 0x7fffffff
	s_mul_hi_u32 s9, s8, 0x7fffffff
	v_lshrrev_b64 v[48:49], 1, v[7:8]
	s_add_i32 s9, s9, s18
	s_mul_i32 s8, s8, 0x7fffffff
	s_sub_u32 s8, s15, s8
	v_cmp_gt_u64_e32 vcc, 2, v[7:8]
	s_subb_u32 s9, s14, s9
	v_mov_b32_e32 v7, v48
	s_or_b64 s[6:7], vcc, s[6:7]
	v_mov_b32_e32 v8, v49
	s_andn2_b64 exec, exec, s[6:7]
	s_cbranch_execz .LBB31_547
.LBB31_545:                             ; =>This Inner Loop Header: Depth=1
	v_and_b32_e32 v5, 1, v7
	v_cmp_eq_u32_e32 vcc, 1, v5
	s_and_saveexec_b64 s[14:15], vcc
	s_cbranch_execz .LBB31_544
; %bb.546:                              ;   in Loop: Header=BB31_545 Depth=1
	v_mad_u64_u32 v[48:49], s[18:19], s8, v9, 0
	v_mul_lo_u32 v9, s9, v9
	v_mul_lo_u32 v10, s8, v10
	v_mul_hi_u32 v5, v48, 5
	v_add3_u32 v39, v49, v10, v9
	v_mad_u64_u32 v[9:10], s[18:19], v39, 5, v[5:6]
	v_mov_b32_e32 v5, v9
	v_mad_u64_u32 v[49:50], s[18:19], v48, 2, v[5:6]
	v_add_co_u32_e32 v9, vcc, v10, v50
	v_addc_co_u32_e64 v10, s[18:19], 0, 0, vcc
	v_mad_u64_u32 v[9:10], s[18:19], v39, 2, v[9:10]
	v_sub_co_u32_e32 v49, vcc, v48, v9
	v_subb_co_u32_e32 v50, vcc, v39, v10, vcc
	v_lshrrev_b64 v[49:50], 1, v[49:50]
	v_add_co_u32_e32 v5, vcc, v49, v9
	v_addc_co_u32_e32 v49, vcc, v50, v10, vcc
	v_alignbit_b32 v5, v49, v5, 30
	v_mad_u64_u32 v[9:10], s[18:19], v5, s17, 0
	v_lshrrev_b32_e32 v49, 30, v49
	v_mov_b32_e32 v5, v10
	v_mad_u64_u32 v[49:50], s[18:19], v49, s17, v[5:6]
	v_sub_co_u32_e32 v9, vcc, v48, v9
	v_subb_co_u32_e32 v10, vcc, v39, v49, vcc
	s_branch .LBB31_544
.LBB31_547:
	s_or_b64 exec, exec, s[6:7]
	v_add_u32_e32 v5, 0x80000001, v9
	v_min_u32_e32 v5, v5, v9
	v_add_u32_e32 v6, 0x80000001, v5
	v_min_u32_e32 v6, v6, v5
.LBB31_548:
	s_or_b64 exec, exec, s[4:5]
	v_mov_b32_e32 v39, 0
	s_movk_i32 s6, 0x1388
	s_mov_b32 s7, 0xbc8f1391
	s_mov_b32 s8, 0xbc8f
	s_brev_b32 s9, 12
	s_mov_b32 s14, 0xf800000
	v_mov_b32_e32 v5, 0x260
.LBB31_549:                             ; =>This Inner Loop Header: Depth=1
	v_mul_hi_u32 v7, v6, s7
	v_add_f32_e32 v8, 1.0, v39
	s_add_i32 s6, s6, -2
	s_cmp_lg_u32 s6, 0
	v_lshrrev_b32_e32 v7, 15, v7
	v_mul_u32_u24_e32 v9, 0xadc8, v7
	v_sub_u32_e32 v6, v6, v9
	v_mul_lo_u32 v6, v6, s8
	v_mul_u32_u24_e32 v7, 0xd47, v7
	v_xor_b32_e32 v9, 0x7fffffff, v7
	v_sub_u32_e32 v10, 0, v7
	v_cmp_lt_u32_e32 vcc, v6, v7
	v_cndmask_b32_e32 v7, v10, v9, vcc
	v_add_u32_e32 v6, v7, v6
	v_mul_hi_u32 v9, v6, s7
	v_add_u32_e32 v7, -1, v6
	v_cvt_f32_u32_e32 v7, v7
	v_lshrrev_b32_e32 v9, 15, v9
	v_mul_u32_u24_e32 v10, 0xadc8, v9
	v_sub_u32_e32 v6, v6, v10
	v_mul_lo_u32 v6, v6, s8
	v_mul_u32_u24_e32 v9, 0xd47, v9
	v_xor_b32_e32 v10, 0x7fffffff, v9
	v_sub_u32_e32 v48, 0, v9
	v_cmp_lt_u32_e32 vcc, v6, v9
	v_cndmask_b32_e32 v9, v48, v10, vcc
	v_add_u32_e32 v6, v9, v6
	v_mul_hi_u32 v10, v6, s7
	v_add_u32_e32 v9, -1, v6
	v_cvt_f32_u32_e32 v9, v9
	v_fma_f32 v7, v7, s9, 0
	v_lshrrev_b32_e32 v10, 15, v10
	v_mul_u32_u24_e32 v48, 0xadc8, v10
	v_fma_f32 v9, v9, s9, 0
	v_sub_u32_e32 v6, v6, v48
	v_mul_f32_e32 v9, v9, v9
	v_mul_lo_u32 v6, v6, s8
	v_fmac_f32_e32 v9, v7, v7
	v_mul_f32_e32 v7, 0x4f800000, v9
	v_cmp_gt_f32_e32 vcc, s14, v9
	v_mul_u32_u24_e32 v10, 0xd47, v10
	v_cndmask_b32_e32 v7, v9, v7, vcc
	v_xor_b32_e32 v48, 0x7fffffff, v10
	v_sub_u32_e32 v49, 0, v10
	v_sqrt_f32_e32 v9, v7
	v_cmp_lt_u32_e64 s[4:5], v6, v10
	v_cndmask_b32_e64 v10, v49, v48, s[4:5]
	v_add_u32_e32 v6, v10, v6
	v_mul_hi_u32 v48, v6, s7
	v_add_u32_e32 v49, -1, v9
	v_add_u32_e32 v50, 1, v9
	v_fma_f32 v51, -v49, v9, v7
	v_fma_f32 v52, -v50, v9, v7
	v_cmp_ge_f32_e64 s[4:5], 0, v51
	v_cndmask_b32_e64 v9, v9, v49, s[4:5]
	v_cmp_lt_f32_e64 s[4:5], 0, v52
	v_lshrrev_b32_e32 v48, 15, v48
	v_cndmask_b32_e64 v9, v9, v50, s[4:5]
	v_mul_u32_u24_e32 v50, 0xadc8, v48
	v_add_u32_e32 v10, -1, v6
	v_sub_u32_e32 v6, v6, v50
	v_mul_f32_e32 v49, 0x37800000, v9
	v_mul_lo_u32 v6, v6, s8
	v_cndmask_b32_e32 v9, v9, v49, vcc
	v_cmp_class_f32_e32 vcc, v7, v5
	v_cndmask_b32_e32 v7, v9, v7, vcc
	v_mul_u32_u24_e32 v48, 0xd47, v48
	v_cmp_nge_f32_e32 vcc, 1.0, v7
	v_xor_b32_e32 v49, 0x7fffffff, v48
	v_sub_u32_e32 v50, 0, v48
	v_cndmask_b32_e32 v7, v8, v39, vcc
	v_cmp_lt_u32_e32 vcc, v6, v48
	v_cndmask_b32_e32 v9, v50, v49, vcc
	v_add_u32_e32 v6, v9, v6
	v_add_u32_e32 v9, -1, v6
	v_cvt_f32_u32_e32 v9, v9
	v_cvt_f32_u32_e32 v10, v10
	v_add_f32_e32 v8, 1.0, v7
	v_fma_f32 v9, v9, s9, 0
	v_fma_f32 v10, v10, s9, 0
	v_mul_f32_e32 v9, v9, v9
	v_fmac_f32_e32 v9, v10, v10
	v_mul_f32_e32 v10, 0x4f800000, v9
	v_cmp_gt_f32_e32 vcc, s14, v9
	v_cndmask_b32_e32 v9, v9, v10, vcc
	v_sqrt_f32_e32 v10, v9
	v_add_u32_e32 v39, -1, v10
	v_add_u32_e32 v48, 1, v10
	v_fma_f32 v49, -v39, v10, v9
	v_fma_f32 v50, -v48, v10, v9
	v_cmp_ge_f32_e64 s[4:5], 0, v49
	v_cndmask_b32_e64 v10, v10, v39, s[4:5]
	v_cmp_lt_f32_e64 s[4:5], 0, v50
	v_cndmask_b32_e64 v10, v10, v48, s[4:5]
	v_mul_f32_e32 v39, 0x37800000, v10
	v_cndmask_b32_e32 v10, v10, v39, vcc
	v_cmp_class_f32_e32 vcc, v9, v5
	v_cndmask_b32_e32 v9, v10, v9, vcc
	v_cmp_nge_f32_e32 vcc, 1.0, v9
	v_cndmask_b32_e32 v39, v8, v7, vcc
	s_cbranch_scc1 .LBB31_549
; %bb.550:
	v_add_u32_e32 v5, 0x20f5800, v4
	v_cmp_ne_u32_e32 vcc, 0, v5
	v_mov_b32_e32 v6, 1
	s_and_saveexec_b64 s[4:5], vcc
	s_cbranch_execz .LBB31_556
; %bb.551:
	v_mov_b32_e32 v6, 0
	v_mov_b32_e32 v9, 1
	;; [unrolled: 1-line block ×3, first 2 shown]
	s_mov_b64 s[8:9], 0xbc8f
	v_mov_b32_e32 v10, 0
	s_mov_b64 s[6:7], 0
	s_brev_b32 s17, -2
	v_mov_b32_e32 v7, v5
	s_branch .LBB31_553
.LBB31_552:                             ;   in Loop: Header=BB31_553 Depth=1
	s_or_b64 exec, exec, s[14:15]
	s_mul_i32 s9, s8, s9
	s_mul_hi_u32 s14, s8, s8
	s_add_i32 s14, s14, s9
	s_add_i32 s14, s14, s9
	s_mul_i32 s15, s8, s8
	s_mul_i32 s9, s14, 3
	s_mul_hi_u32 s18, s15, 3
	s_mul_hi_u32 s8, s14, 3
	s_add_u32 s9, s9, s18
	s_addc_u32 s8, s8, 0
	s_mul_i32 s19, s15, 0x80000001
	s_mul_hi_u32 s18, s15, 0x80000001
	s_add_u32 s9, s19, s9
	s_addc_u32 s9, s18, 0
	s_add_u32 s8, s8, s9
	s_addc_u32 s9, 0, 0
	s_mul_i32 s19, s14, 0x80000001
	s_mul_hi_u32 s18, s14, 0x80000001
	s_add_u32 s8, s19, s8
	s_addc_u32 s9, s18, s9
	s_lshr_b32 s18, s9, 30
	s_lshr_b64 s[8:9], s[8:9], 30
	s_mul_i32 s18, s18, 0x7fffffff
	s_mul_hi_u32 s9, s8, 0x7fffffff
	v_lshrrev_b64 v[48:49], 1, v[7:8]
	s_add_i32 s9, s9, s18
	s_mul_i32 s8, s8, 0x7fffffff
	s_sub_u32 s8, s15, s8
	v_cmp_gt_u64_e32 vcc, 2, v[7:8]
	s_subb_u32 s9, s14, s9
	v_mov_b32_e32 v7, v48
	s_or_b64 s[6:7], vcc, s[6:7]
	v_mov_b32_e32 v8, v49
	s_andn2_b64 exec, exec, s[6:7]
	s_cbranch_execz .LBB31_555
.LBB31_553:                             ; =>This Inner Loop Header: Depth=1
	v_and_b32_e32 v5, 1, v7
	v_cmp_eq_u32_e32 vcc, 1, v5
	s_and_saveexec_b64 s[14:15], vcc
	s_cbranch_execz .LBB31_552
; %bb.554:                              ;   in Loop: Header=BB31_553 Depth=1
	v_mad_u64_u32 v[48:49], s[18:19], s8, v9, 0
	v_mul_lo_u32 v9, s9, v9
	v_mul_lo_u32 v10, s8, v10
	v_mul_hi_u32 v5, v48, 5
	v_add3_u32 v51, v49, v10, v9
	v_mad_u64_u32 v[9:10], s[18:19], v51, 5, v[5:6]
	v_mov_b32_e32 v5, v9
	v_mad_u64_u32 v[49:50], s[18:19], v48, 2, v[5:6]
	v_add_co_u32_e32 v9, vcc, v10, v50
	v_addc_co_u32_e64 v10, s[18:19], 0, 0, vcc
	v_mad_u64_u32 v[9:10], s[18:19], v51, 2, v[9:10]
	v_sub_co_u32_e32 v49, vcc, v48, v9
	v_subb_co_u32_e32 v50, vcc, v51, v10, vcc
	v_lshrrev_b64 v[49:50], 1, v[49:50]
	v_add_co_u32_e32 v5, vcc, v49, v9
	v_addc_co_u32_e32 v49, vcc, v50, v10, vcc
	v_alignbit_b32 v5, v49, v5, 30
	v_mad_u64_u32 v[9:10], s[18:19], v5, s17, 0
	v_lshrrev_b32_e32 v49, 30, v49
	v_mov_b32_e32 v5, v10
	v_mad_u64_u32 v[49:50], s[18:19], v49, s17, v[5:6]
	v_sub_co_u32_e32 v9, vcc, v48, v9
	v_subb_co_u32_e32 v10, vcc, v51, v49, vcc
	s_branch .LBB31_552
.LBB31_555:
	s_or_b64 exec, exec, s[6:7]
	v_add_u32_e32 v5, 0x80000001, v9
	v_min_u32_e32 v5, v5, v9
	v_add_u32_e32 v6, 0x80000001, v5
	v_min_u32_e32 v6, v6, v5
.LBB31_556:
	s_or_b64 exec, exec, s[4:5]
	v_mov_b32_e32 v48, 0
	s_movk_i32 s6, 0x1388
	s_mov_b32 s7, 0xbc8f1391
	s_mov_b32 s8, 0xbc8f
	s_brev_b32 s9, 12
	s_mov_b32 s14, 0xf800000
	v_mov_b32_e32 v5, 0x260
.LBB31_557:                             ; =>This Inner Loop Header: Depth=1
	v_mul_hi_u32 v7, v6, s7
	v_add_f32_e32 v8, 1.0, v48
	s_add_i32 s6, s6, -2
	s_cmp_lg_u32 s6, 0
	v_lshrrev_b32_e32 v7, 15, v7
	v_mul_u32_u24_e32 v9, 0xadc8, v7
	v_sub_u32_e32 v6, v6, v9
	v_mul_lo_u32 v6, v6, s8
	v_mul_u32_u24_e32 v7, 0xd47, v7
	v_xor_b32_e32 v9, 0x7fffffff, v7
	v_sub_u32_e32 v10, 0, v7
	v_cmp_lt_u32_e32 vcc, v6, v7
	v_cndmask_b32_e32 v7, v10, v9, vcc
	v_add_u32_e32 v6, v7, v6
	v_mul_hi_u32 v9, v6, s7
	v_add_u32_e32 v7, -1, v6
	v_cvt_f32_u32_e32 v7, v7
	v_lshrrev_b32_e32 v9, 15, v9
	v_mul_u32_u24_e32 v10, 0xadc8, v9
	v_sub_u32_e32 v6, v6, v10
	v_mul_lo_u32 v6, v6, s8
	v_mul_u32_u24_e32 v9, 0xd47, v9
	v_xor_b32_e32 v10, 0x7fffffff, v9
	v_sub_u32_e32 v49, 0, v9
	v_cmp_lt_u32_e32 vcc, v6, v9
	v_cndmask_b32_e32 v9, v49, v10, vcc
	v_add_u32_e32 v6, v9, v6
	v_mul_hi_u32 v10, v6, s7
	v_add_u32_e32 v9, -1, v6
	v_cvt_f32_u32_e32 v9, v9
	v_fma_f32 v7, v7, s9, 0
	v_lshrrev_b32_e32 v10, 15, v10
	v_mul_u32_u24_e32 v49, 0xadc8, v10
	v_fma_f32 v9, v9, s9, 0
	v_sub_u32_e32 v6, v6, v49
	v_mul_f32_e32 v9, v9, v9
	v_mul_lo_u32 v6, v6, s8
	v_fmac_f32_e32 v9, v7, v7
	v_mul_f32_e32 v7, 0x4f800000, v9
	v_cmp_gt_f32_e32 vcc, s14, v9
	v_mul_u32_u24_e32 v10, 0xd47, v10
	v_cndmask_b32_e32 v7, v9, v7, vcc
	v_xor_b32_e32 v49, 0x7fffffff, v10
	v_sub_u32_e32 v50, 0, v10
	v_sqrt_f32_e32 v9, v7
	v_cmp_lt_u32_e64 s[4:5], v6, v10
	v_cndmask_b32_e64 v10, v50, v49, s[4:5]
	v_add_u32_e32 v6, v10, v6
	v_mul_hi_u32 v49, v6, s7
	v_add_u32_e32 v50, -1, v9
	v_add_u32_e32 v51, 1, v9
	v_fma_f32 v52, -v50, v9, v7
	v_fma_f32 v53, -v51, v9, v7
	v_cmp_ge_f32_e64 s[4:5], 0, v52
	v_cndmask_b32_e64 v9, v9, v50, s[4:5]
	v_cmp_lt_f32_e64 s[4:5], 0, v53
	v_lshrrev_b32_e32 v49, 15, v49
	v_cndmask_b32_e64 v9, v9, v51, s[4:5]
	v_mul_u32_u24_e32 v51, 0xadc8, v49
	v_add_u32_e32 v10, -1, v6
	v_sub_u32_e32 v6, v6, v51
	v_mul_f32_e32 v50, 0x37800000, v9
	v_mul_lo_u32 v6, v6, s8
	v_cndmask_b32_e32 v9, v9, v50, vcc
	v_cmp_class_f32_e32 vcc, v7, v5
	v_cndmask_b32_e32 v7, v9, v7, vcc
	v_mul_u32_u24_e32 v49, 0xd47, v49
	v_cmp_nge_f32_e32 vcc, 1.0, v7
	v_xor_b32_e32 v50, 0x7fffffff, v49
	v_sub_u32_e32 v51, 0, v49
	v_cndmask_b32_e32 v7, v8, v48, vcc
	v_cmp_lt_u32_e32 vcc, v6, v49
	v_cndmask_b32_e32 v9, v51, v50, vcc
	v_add_u32_e32 v6, v9, v6
	v_add_u32_e32 v9, -1, v6
	v_cvt_f32_u32_e32 v9, v9
	v_cvt_f32_u32_e32 v10, v10
	v_add_f32_e32 v8, 1.0, v7
	v_fma_f32 v9, v9, s9, 0
	v_fma_f32 v10, v10, s9, 0
	v_mul_f32_e32 v9, v9, v9
	v_fmac_f32_e32 v9, v10, v10
	v_mul_f32_e32 v10, 0x4f800000, v9
	v_cmp_gt_f32_e32 vcc, s14, v9
	v_cndmask_b32_e32 v9, v9, v10, vcc
	v_sqrt_f32_e32 v10, v9
	v_add_u32_e32 v48, -1, v10
	v_add_u32_e32 v49, 1, v10
	v_fma_f32 v50, -v48, v10, v9
	v_fma_f32 v51, -v49, v10, v9
	v_cmp_ge_f32_e64 s[4:5], 0, v50
	v_cndmask_b32_e64 v10, v10, v48, s[4:5]
	v_cmp_lt_f32_e64 s[4:5], 0, v51
	v_cndmask_b32_e64 v10, v10, v49, s[4:5]
	v_mul_f32_e32 v48, 0x37800000, v10
	v_cndmask_b32_e32 v10, v10, v48, vcc
	v_cmp_class_f32_e32 vcc, v9, v5
	v_cndmask_b32_e32 v9, v10, v9, vcc
	v_cmp_nge_f32_e32 vcc, 1.0, v9
	v_cndmask_b32_e32 v48, v8, v7, vcc
	s_cbranch_scc1 .LBB31_557
; %bb.558:
	v_add_u32_e32 v5, 0x222e000, v4
	v_cmp_ne_u32_e32 vcc, 0, v5
	v_mov_b32_e32 v6, 1
	s_and_saveexec_b64 s[4:5], vcc
	s_cbranch_execz .LBB31_564
; %bb.559:
	v_mov_b32_e32 v6, 0
	v_mov_b32_e32 v9, 1
	;; [unrolled: 1-line block ×3, first 2 shown]
	s_mov_b64 s[8:9], 0xbc8f
	v_mov_b32_e32 v10, 0
	s_mov_b64 s[6:7], 0
	s_brev_b32 s17, -2
	v_mov_b32_e32 v7, v5
	s_branch .LBB31_561
.LBB31_560:                             ;   in Loop: Header=BB31_561 Depth=1
	s_or_b64 exec, exec, s[14:15]
	s_mul_i32 s9, s8, s9
	s_mul_hi_u32 s14, s8, s8
	s_add_i32 s14, s14, s9
	s_add_i32 s14, s14, s9
	s_mul_i32 s15, s8, s8
	s_mul_i32 s9, s14, 3
	s_mul_hi_u32 s18, s15, 3
	s_mul_hi_u32 s8, s14, 3
	s_add_u32 s9, s9, s18
	s_addc_u32 s8, s8, 0
	s_mul_i32 s19, s15, 0x80000001
	s_mul_hi_u32 s18, s15, 0x80000001
	s_add_u32 s9, s19, s9
	s_addc_u32 s9, s18, 0
	s_add_u32 s8, s8, s9
	s_addc_u32 s9, 0, 0
	s_mul_i32 s19, s14, 0x80000001
	s_mul_hi_u32 s18, s14, 0x80000001
	s_add_u32 s8, s19, s8
	s_addc_u32 s9, s18, s9
	s_lshr_b32 s18, s9, 30
	s_lshr_b64 s[8:9], s[8:9], 30
	s_mul_i32 s18, s18, 0x7fffffff
	s_mul_hi_u32 s9, s8, 0x7fffffff
	v_lshrrev_b64 v[49:50], 1, v[7:8]
	s_add_i32 s9, s9, s18
	s_mul_i32 s8, s8, 0x7fffffff
	s_sub_u32 s8, s15, s8
	v_cmp_gt_u64_e32 vcc, 2, v[7:8]
	s_subb_u32 s9, s14, s9
	v_mov_b32_e32 v7, v49
	s_or_b64 s[6:7], vcc, s[6:7]
	v_mov_b32_e32 v8, v50
	s_andn2_b64 exec, exec, s[6:7]
	s_cbranch_execz .LBB31_563
.LBB31_561:                             ; =>This Inner Loop Header: Depth=1
	v_and_b32_e32 v5, 1, v7
	v_cmp_eq_u32_e32 vcc, 1, v5
	s_and_saveexec_b64 s[14:15], vcc
	s_cbranch_execz .LBB31_560
; %bb.562:                              ;   in Loop: Header=BB31_561 Depth=1
	v_mad_u64_u32 v[49:50], s[18:19], s8, v9, 0
	v_mul_lo_u32 v9, s9, v9
	v_mul_lo_u32 v10, s8, v10
	v_mul_hi_u32 v5, v49, 5
	v_add3_u32 v52, v50, v10, v9
	v_mad_u64_u32 v[9:10], s[18:19], v52, 5, v[5:6]
	v_mov_b32_e32 v5, v9
	v_mad_u64_u32 v[50:51], s[18:19], v49, 2, v[5:6]
	v_add_co_u32_e32 v9, vcc, v10, v51
	v_addc_co_u32_e64 v10, s[18:19], 0, 0, vcc
	v_mad_u64_u32 v[9:10], s[18:19], v52, 2, v[9:10]
	v_sub_co_u32_e32 v50, vcc, v49, v9
	v_subb_co_u32_e32 v51, vcc, v52, v10, vcc
	v_lshrrev_b64 v[50:51], 1, v[50:51]
	v_add_co_u32_e32 v5, vcc, v50, v9
	v_addc_co_u32_e32 v50, vcc, v51, v10, vcc
	v_alignbit_b32 v5, v50, v5, 30
	v_mad_u64_u32 v[9:10], s[18:19], v5, s17, 0
	v_lshrrev_b32_e32 v50, 30, v50
	v_mov_b32_e32 v5, v10
	v_mad_u64_u32 v[50:51], s[18:19], v50, s17, v[5:6]
	v_sub_co_u32_e32 v9, vcc, v49, v9
	v_subb_co_u32_e32 v10, vcc, v52, v50, vcc
	s_branch .LBB31_560
.LBB31_563:
	s_or_b64 exec, exec, s[6:7]
	v_add_u32_e32 v5, 0x80000001, v9
	v_min_u32_e32 v5, v5, v9
	v_add_u32_e32 v6, 0x80000001, v5
	v_min_u32_e32 v6, v6, v5
.LBB31_564:
	s_or_b64 exec, exec, s[4:5]
	v_mov_b32_e32 v49, 0
	s_movk_i32 s6, 0x1388
	s_mov_b32 s7, 0xbc8f1391
	s_mov_b32 s8, 0xbc8f
	s_brev_b32 s9, 12
	s_mov_b32 s14, 0xf800000
	v_mov_b32_e32 v5, 0x260
.LBB31_565:                             ; =>This Inner Loop Header: Depth=1
	v_mul_hi_u32 v7, v6, s7
	v_add_f32_e32 v8, 1.0, v49
	s_add_i32 s6, s6, -2
	s_cmp_lg_u32 s6, 0
	v_lshrrev_b32_e32 v7, 15, v7
	v_mul_u32_u24_e32 v9, 0xadc8, v7
	v_sub_u32_e32 v6, v6, v9
	v_mul_lo_u32 v6, v6, s8
	v_mul_u32_u24_e32 v7, 0xd47, v7
	v_xor_b32_e32 v9, 0x7fffffff, v7
	v_sub_u32_e32 v10, 0, v7
	v_cmp_lt_u32_e32 vcc, v6, v7
	v_cndmask_b32_e32 v7, v10, v9, vcc
	v_add_u32_e32 v6, v7, v6
	v_mul_hi_u32 v9, v6, s7
	v_add_u32_e32 v7, -1, v6
	v_cvt_f32_u32_e32 v7, v7
	v_lshrrev_b32_e32 v9, 15, v9
	v_mul_u32_u24_e32 v10, 0xadc8, v9
	v_sub_u32_e32 v6, v6, v10
	v_mul_lo_u32 v6, v6, s8
	v_mul_u32_u24_e32 v9, 0xd47, v9
	v_xor_b32_e32 v10, 0x7fffffff, v9
	v_sub_u32_e32 v50, 0, v9
	v_cmp_lt_u32_e32 vcc, v6, v9
	v_cndmask_b32_e32 v9, v50, v10, vcc
	v_add_u32_e32 v6, v9, v6
	v_mul_hi_u32 v10, v6, s7
	v_add_u32_e32 v9, -1, v6
	v_cvt_f32_u32_e32 v9, v9
	v_fma_f32 v7, v7, s9, 0
	v_lshrrev_b32_e32 v10, 15, v10
	v_mul_u32_u24_e32 v50, 0xadc8, v10
	v_fma_f32 v9, v9, s9, 0
	v_sub_u32_e32 v6, v6, v50
	v_mul_f32_e32 v9, v9, v9
	v_mul_lo_u32 v6, v6, s8
	v_fmac_f32_e32 v9, v7, v7
	v_mul_f32_e32 v7, 0x4f800000, v9
	v_cmp_gt_f32_e32 vcc, s14, v9
	v_mul_u32_u24_e32 v10, 0xd47, v10
	v_cndmask_b32_e32 v7, v9, v7, vcc
	v_xor_b32_e32 v50, 0x7fffffff, v10
	v_sub_u32_e32 v51, 0, v10
	v_sqrt_f32_e32 v9, v7
	v_cmp_lt_u32_e64 s[4:5], v6, v10
	v_cndmask_b32_e64 v10, v51, v50, s[4:5]
	v_add_u32_e32 v6, v10, v6
	v_mul_hi_u32 v50, v6, s7
	v_add_u32_e32 v51, -1, v9
	v_add_u32_e32 v52, 1, v9
	v_fma_f32 v53, -v51, v9, v7
	v_fma_f32 v54, -v52, v9, v7
	v_cmp_ge_f32_e64 s[4:5], 0, v53
	v_cndmask_b32_e64 v9, v9, v51, s[4:5]
	v_cmp_lt_f32_e64 s[4:5], 0, v54
	v_lshrrev_b32_e32 v50, 15, v50
	v_cndmask_b32_e64 v9, v9, v52, s[4:5]
	v_mul_u32_u24_e32 v52, 0xadc8, v50
	v_add_u32_e32 v10, -1, v6
	v_sub_u32_e32 v6, v6, v52
	v_mul_f32_e32 v51, 0x37800000, v9
	v_mul_lo_u32 v6, v6, s8
	v_cndmask_b32_e32 v9, v9, v51, vcc
	v_cmp_class_f32_e32 vcc, v7, v5
	v_cndmask_b32_e32 v7, v9, v7, vcc
	v_mul_u32_u24_e32 v50, 0xd47, v50
	v_cmp_nge_f32_e32 vcc, 1.0, v7
	v_xor_b32_e32 v51, 0x7fffffff, v50
	v_sub_u32_e32 v52, 0, v50
	v_cndmask_b32_e32 v7, v8, v49, vcc
	v_cmp_lt_u32_e32 vcc, v6, v50
	v_cndmask_b32_e32 v9, v52, v51, vcc
	v_add_u32_e32 v6, v9, v6
	v_add_u32_e32 v9, -1, v6
	v_cvt_f32_u32_e32 v9, v9
	v_cvt_f32_u32_e32 v10, v10
	v_add_f32_e32 v8, 1.0, v7
	v_fma_f32 v9, v9, s9, 0
	v_fma_f32 v10, v10, s9, 0
	v_mul_f32_e32 v9, v9, v9
	v_fmac_f32_e32 v9, v10, v10
	v_mul_f32_e32 v10, 0x4f800000, v9
	v_cmp_gt_f32_e32 vcc, s14, v9
	v_cndmask_b32_e32 v9, v9, v10, vcc
	v_sqrt_f32_e32 v10, v9
	v_add_u32_e32 v49, -1, v10
	v_add_u32_e32 v50, 1, v10
	v_fma_f32 v51, -v49, v10, v9
	v_fma_f32 v52, -v50, v10, v9
	v_cmp_ge_f32_e64 s[4:5], 0, v51
	v_cndmask_b32_e64 v10, v10, v49, s[4:5]
	v_cmp_lt_f32_e64 s[4:5], 0, v52
	v_cndmask_b32_e64 v10, v10, v50, s[4:5]
	v_mul_f32_e32 v49, 0x37800000, v10
	v_cndmask_b32_e32 v10, v10, v49, vcc
	v_cmp_class_f32_e32 vcc, v9, v5
	v_cndmask_b32_e32 v9, v10, v9, vcc
	v_cmp_nge_f32_e32 vcc, 1.0, v9
	v_cndmask_b32_e32 v49, v8, v7, vcc
	s_cbranch_scc1 .LBB31_565
; %bb.566:
	v_add_u32_e32 v5, 0x2366800, v4
	v_cmp_ne_u32_e32 vcc, 0, v5
	v_mov_b32_e32 v6, 1
	s_and_saveexec_b64 s[4:5], vcc
	s_cbranch_execz .LBB31_572
; %bb.567:
	v_mov_b32_e32 v6, 0
	v_mov_b32_e32 v9, 1
	;; [unrolled: 1-line block ×3, first 2 shown]
	s_mov_b64 s[8:9], 0xbc8f
	v_mov_b32_e32 v10, 0
	s_mov_b64 s[6:7], 0
	s_brev_b32 s17, -2
	v_mov_b32_e32 v7, v5
	s_branch .LBB31_569
.LBB31_568:                             ;   in Loop: Header=BB31_569 Depth=1
	s_or_b64 exec, exec, s[14:15]
	s_mul_i32 s9, s8, s9
	s_mul_hi_u32 s14, s8, s8
	s_add_i32 s14, s14, s9
	s_add_i32 s14, s14, s9
	s_mul_i32 s15, s8, s8
	s_mul_i32 s9, s14, 3
	s_mul_hi_u32 s18, s15, 3
	s_mul_hi_u32 s8, s14, 3
	s_add_u32 s9, s9, s18
	s_addc_u32 s8, s8, 0
	s_mul_i32 s19, s15, 0x80000001
	s_mul_hi_u32 s18, s15, 0x80000001
	s_add_u32 s9, s19, s9
	s_addc_u32 s9, s18, 0
	s_add_u32 s8, s8, s9
	s_addc_u32 s9, 0, 0
	s_mul_i32 s19, s14, 0x80000001
	s_mul_hi_u32 s18, s14, 0x80000001
	s_add_u32 s8, s19, s8
	s_addc_u32 s9, s18, s9
	s_lshr_b32 s18, s9, 30
	s_lshr_b64 s[8:9], s[8:9], 30
	s_mul_i32 s18, s18, 0x7fffffff
	s_mul_hi_u32 s9, s8, 0x7fffffff
	v_lshrrev_b64 v[50:51], 1, v[7:8]
	s_add_i32 s9, s9, s18
	s_mul_i32 s8, s8, 0x7fffffff
	s_sub_u32 s8, s15, s8
	v_cmp_gt_u64_e32 vcc, 2, v[7:8]
	s_subb_u32 s9, s14, s9
	v_mov_b32_e32 v7, v50
	s_or_b64 s[6:7], vcc, s[6:7]
	v_mov_b32_e32 v8, v51
	s_andn2_b64 exec, exec, s[6:7]
	s_cbranch_execz .LBB31_571
.LBB31_569:                             ; =>This Inner Loop Header: Depth=1
	v_and_b32_e32 v5, 1, v7
	v_cmp_eq_u32_e32 vcc, 1, v5
	s_and_saveexec_b64 s[14:15], vcc
	s_cbranch_execz .LBB31_568
; %bb.570:                              ;   in Loop: Header=BB31_569 Depth=1
	v_mad_u64_u32 v[50:51], s[18:19], s8, v9, 0
	v_mul_lo_u32 v9, s9, v9
	v_mul_lo_u32 v10, s8, v10
	v_mul_hi_u32 v5, v50, 5
	v_add3_u32 v53, v51, v10, v9
	v_mad_u64_u32 v[9:10], s[18:19], v53, 5, v[5:6]
	v_mov_b32_e32 v5, v9
	v_mad_u64_u32 v[51:52], s[18:19], v50, 2, v[5:6]
	v_add_co_u32_e32 v9, vcc, v10, v52
	v_addc_co_u32_e64 v10, s[18:19], 0, 0, vcc
	v_mad_u64_u32 v[9:10], s[18:19], v53, 2, v[9:10]
	v_sub_co_u32_e32 v51, vcc, v50, v9
	v_subb_co_u32_e32 v52, vcc, v53, v10, vcc
	v_lshrrev_b64 v[51:52], 1, v[51:52]
	v_add_co_u32_e32 v5, vcc, v51, v9
	v_addc_co_u32_e32 v51, vcc, v52, v10, vcc
	v_alignbit_b32 v5, v51, v5, 30
	v_mad_u64_u32 v[9:10], s[18:19], v5, s17, 0
	v_lshrrev_b32_e32 v51, 30, v51
	v_mov_b32_e32 v5, v10
	v_mad_u64_u32 v[51:52], s[18:19], v51, s17, v[5:6]
	v_sub_co_u32_e32 v9, vcc, v50, v9
	v_subb_co_u32_e32 v10, vcc, v53, v51, vcc
	s_branch .LBB31_568
.LBB31_571:
	s_or_b64 exec, exec, s[6:7]
	v_add_u32_e32 v5, 0x80000001, v9
	v_min_u32_e32 v5, v5, v9
	v_add_u32_e32 v6, 0x80000001, v5
	v_min_u32_e32 v6, v6, v5
.LBB31_572:
	s_or_b64 exec, exec, s[4:5]
	v_mov_b32_e32 v50, 0
	s_movk_i32 s6, 0x1388
	s_mov_b32 s7, 0xbc8f1391
	s_mov_b32 s8, 0xbc8f
	s_brev_b32 s9, 12
	s_mov_b32 s14, 0xf800000
	v_mov_b32_e32 v5, 0x260
.LBB31_573:                             ; =>This Inner Loop Header: Depth=1
	v_mul_hi_u32 v7, v6, s7
	v_add_f32_e32 v8, 1.0, v50
	s_add_i32 s6, s6, -2
	s_cmp_lg_u32 s6, 0
	v_lshrrev_b32_e32 v7, 15, v7
	v_mul_u32_u24_e32 v9, 0xadc8, v7
	v_sub_u32_e32 v6, v6, v9
	v_mul_lo_u32 v6, v6, s8
	v_mul_u32_u24_e32 v7, 0xd47, v7
	v_xor_b32_e32 v9, 0x7fffffff, v7
	v_sub_u32_e32 v10, 0, v7
	v_cmp_lt_u32_e32 vcc, v6, v7
	v_cndmask_b32_e32 v7, v10, v9, vcc
	v_add_u32_e32 v6, v7, v6
	v_mul_hi_u32 v9, v6, s7
	v_add_u32_e32 v7, -1, v6
	v_cvt_f32_u32_e32 v7, v7
	v_lshrrev_b32_e32 v9, 15, v9
	v_mul_u32_u24_e32 v10, 0xadc8, v9
	v_sub_u32_e32 v6, v6, v10
	v_mul_lo_u32 v6, v6, s8
	v_mul_u32_u24_e32 v9, 0xd47, v9
	v_xor_b32_e32 v10, 0x7fffffff, v9
	v_sub_u32_e32 v51, 0, v9
	v_cmp_lt_u32_e32 vcc, v6, v9
	v_cndmask_b32_e32 v9, v51, v10, vcc
	v_add_u32_e32 v6, v9, v6
	v_mul_hi_u32 v10, v6, s7
	v_add_u32_e32 v9, -1, v6
	v_cvt_f32_u32_e32 v9, v9
	v_fma_f32 v7, v7, s9, 0
	v_lshrrev_b32_e32 v10, 15, v10
	v_mul_u32_u24_e32 v51, 0xadc8, v10
	v_fma_f32 v9, v9, s9, 0
	v_sub_u32_e32 v6, v6, v51
	v_mul_f32_e32 v9, v9, v9
	v_mul_lo_u32 v6, v6, s8
	v_fmac_f32_e32 v9, v7, v7
	v_mul_f32_e32 v7, 0x4f800000, v9
	v_cmp_gt_f32_e32 vcc, s14, v9
	v_mul_u32_u24_e32 v10, 0xd47, v10
	v_cndmask_b32_e32 v7, v9, v7, vcc
	v_xor_b32_e32 v51, 0x7fffffff, v10
	v_sub_u32_e32 v52, 0, v10
	v_sqrt_f32_e32 v9, v7
	v_cmp_lt_u32_e64 s[4:5], v6, v10
	v_cndmask_b32_e64 v10, v52, v51, s[4:5]
	v_add_u32_e32 v6, v10, v6
	v_mul_hi_u32 v51, v6, s7
	v_add_u32_e32 v52, -1, v9
	v_add_u32_e32 v53, 1, v9
	v_fma_f32 v54, -v52, v9, v7
	v_fma_f32 v55, -v53, v9, v7
	v_cmp_ge_f32_e64 s[4:5], 0, v54
	v_cndmask_b32_e64 v9, v9, v52, s[4:5]
	v_cmp_lt_f32_e64 s[4:5], 0, v55
	v_lshrrev_b32_e32 v51, 15, v51
	v_cndmask_b32_e64 v9, v9, v53, s[4:5]
	v_mul_u32_u24_e32 v53, 0xadc8, v51
	v_add_u32_e32 v10, -1, v6
	v_sub_u32_e32 v6, v6, v53
	v_mul_f32_e32 v52, 0x37800000, v9
	v_mul_lo_u32 v6, v6, s8
	v_cndmask_b32_e32 v9, v9, v52, vcc
	v_cmp_class_f32_e32 vcc, v7, v5
	v_cndmask_b32_e32 v7, v9, v7, vcc
	v_mul_u32_u24_e32 v51, 0xd47, v51
	v_cmp_nge_f32_e32 vcc, 1.0, v7
	v_xor_b32_e32 v52, 0x7fffffff, v51
	v_sub_u32_e32 v53, 0, v51
	v_cndmask_b32_e32 v7, v8, v50, vcc
	v_cmp_lt_u32_e32 vcc, v6, v51
	v_cndmask_b32_e32 v9, v53, v52, vcc
	v_add_u32_e32 v6, v9, v6
	v_add_u32_e32 v9, -1, v6
	v_cvt_f32_u32_e32 v9, v9
	v_cvt_f32_u32_e32 v10, v10
	v_add_f32_e32 v8, 1.0, v7
	v_fma_f32 v9, v9, s9, 0
	v_fma_f32 v10, v10, s9, 0
	v_mul_f32_e32 v9, v9, v9
	v_fmac_f32_e32 v9, v10, v10
	v_mul_f32_e32 v10, 0x4f800000, v9
	v_cmp_gt_f32_e32 vcc, s14, v9
	v_cndmask_b32_e32 v9, v9, v10, vcc
	v_sqrt_f32_e32 v10, v9
	v_add_u32_e32 v50, -1, v10
	v_add_u32_e32 v51, 1, v10
	v_fma_f32 v52, -v50, v10, v9
	v_fma_f32 v53, -v51, v10, v9
	v_cmp_ge_f32_e64 s[4:5], 0, v52
	v_cndmask_b32_e64 v10, v10, v50, s[4:5]
	v_cmp_lt_f32_e64 s[4:5], 0, v53
	v_cndmask_b32_e64 v10, v10, v51, s[4:5]
	v_mul_f32_e32 v50, 0x37800000, v10
	v_cndmask_b32_e32 v10, v10, v50, vcc
	v_cmp_class_f32_e32 vcc, v9, v5
	v_cndmask_b32_e32 v9, v10, v9, vcc
	v_cmp_nge_f32_e32 vcc, 1.0, v9
	v_cndmask_b32_e32 v50, v8, v7, vcc
	s_cbranch_scc1 .LBB31_573
; %bb.574:
	v_add_u32_e32 v5, 0x249f000, v4
	v_cmp_ne_u32_e32 vcc, 0, v5
	v_mov_b32_e32 v6, 1
	s_and_saveexec_b64 s[4:5], vcc
	s_cbranch_execz .LBB31_580
; %bb.575:
	v_mov_b32_e32 v6, 0
	v_mov_b32_e32 v9, 1
	v_mov_b32_e32 v8, v6
	s_mov_b64 s[8:9], 0xbc8f
	v_mov_b32_e32 v10, 0
	s_mov_b64 s[6:7], 0
	s_brev_b32 s17, -2
	v_mov_b32_e32 v7, v5
	s_branch .LBB31_577
.LBB31_576:                             ;   in Loop: Header=BB31_577 Depth=1
	s_or_b64 exec, exec, s[14:15]
	s_mul_i32 s9, s8, s9
	s_mul_hi_u32 s14, s8, s8
	s_add_i32 s14, s14, s9
	s_add_i32 s14, s14, s9
	s_mul_i32 s15, s8, s8
	s_mul_i32 s9, s14, 3
	s_mul_hi_u32 s18, s15, 3
	s_mul_hi_u32 s8, s14, 3
	s_add_u32 s9, s9, s18
	s_addc_u32 s8, s8, 0
	s_mul_i32 s19, s15, 0x80000001
	s_mul_hi_u32 s18, s15, 0x80000001
	s_add_u32 s9, s19, s9
	s_addc_u32 s9, s18, 0
	s_add_u32 s8, s8, s9
	s_addc_u32 s9, 0, 0
	s_mul_i32 s19, s14, 0x80000001
	s_mul_hi_u32 s18, s14, 0x80000001
	s_add_u32 s8, s19, s8
	s_addc_u32 s9, s18, s9
	s_lshr_b32 s18, s9, 30
	s_lshr_b64 s[8:9], s[8:9], 30
	s_mul_i32 s18, s18, 0x7fffffff
	s_mul_hi_u32 s9, s8, 0x7fffffff
	v_lshrrev_b64 v[51:52], 1, v[7:8]
	s_add_i32 s9, s9, s18
	s_mul_i32 s8, s8, 0x7fffffff
	s_sub_u32 s8, s15, s8
	v_cmp_gt_u64_e32 vcc, 2, v[7:8]
	s_subb_u32 s9, s14, s9
	v_mov_b32_e32 v7, v51
	s_or_b64 s[6:7], vcc, s[6:7]
	v_mov_b32_e32 v8, v52
	s_andn2_b64 exec, exec, s[6:7]
	s_cbranch_execz .LBB31_579
.LBB31_577:                             ; =>This Inner Loop Header: Depth=1
	v_and_b32_e32 v5, 1, v7
	v_cmp_eq_u32_e32 vcc, 1, v5
	s_and_saveexec_b64 s[14:15], vcc
	s_cbranch_execz .LBB31_576
; %bb.578:                              ;   in Loop: Header=BB31_577 Depth=1
	v_mad_u64_u32 v[51:52], s[18:19], s8, v9, 0
	v_mul_lo_u32 v9, s9, v9
	v_mul_lo_u32 v10, s8, v10
	v_mul_hi_u32 v5, v51, 5
	v_add3_u32 v54, v52, v10, v9
	v_mad_u64_u32 v[9:10], s[18:19], v54, 5, v[5:6]
	v_mov_b32_e32 v5, v9
	v_mad_u64_u32 v[52:53], s[18:19], v51, 2, v[5:6]
	v_add_co_u32_e32 v9, vcc, v10, v53
	v_addc_co_u32_e64 v10, s[18:19], 0, 0, vcc
	v_mad_u64_u32 v[9:10], s[18:19], v54, 2, v[9:10]
	v_sub_co_u32_e32 v52, vcc, v51, v9
	v_subb_co_u32_e32 v53, vcc, v54, v10, vcc
	v_lshrrev_b64 v[52:53], 1, v[52:53]
	v_add_co_u32_e32 v5, vcc, v52, v9
	v_addc_co_u32_e32 v52, vcc, v53, v10, vcc
	v_alignbit_b32 v5, v52, v5, 30
	v_mad_u64_u32 v[9:10], s[18:19], v5, s17, 0
	v_lshrrev_b32_e32 v52, 30, v52
	v_mov_b32_e32 v5, v10
	v_mad_u64_u32 v[52:53], s[18:19], v52, s17, v[5:6]
	v_sub_co_u32_e32 v9, vcc, v51, v9
	v_subb_co_u32_e32 v10, vcc, v54, v52, vcc
	s_branch .LBB31_576
.LBB31_579:
	s_or_b64 exec, exec, s[6:7]
	v_add_u32_e32 v5, 0x80000001, v9
	v_min_u32_e32 v5, v5, v9
	v_add_u32_e32 v6, 0x80000001, v5
	v_min_u32_e32 v6, v6, v5
.LBB31_580:
	s_or_b64 exec, exec, s[4:5]
	v_mov_b32_e32 v10, 0
	s_movk_i32 s6, 0x1388
	s_mov_b32 s7, 0xbc8f1391
	s_mov_b32 s8, 0xbc8f
	s_brev_b32 s9, 12
	s_mov_b32 s14, 0xf800000
	v_mov_b32_e32 v5, 0x260
.LBB31_581:                             ; =>This Inner Loop Header: Depth=1
	v_mul_hi_u32 v7, v6, s7
	v_add_f32_e32 v8, 1.0, v10
	s_add_i32 s6, s6, -2
	s_cmp_lg_u32 s6, 0
	v_lshrrev_b32_e32 v7, 15, v7
	v_mul_u32_u24_e32 v9, 0xadc8, v7
	v_sub_u32_e32 v6, v6, v9
	v_mul_lo_u32 v6, v6, s8
	v_mul_u32_u24_e32 v7, 0xd47, v7
	v_xor_b32_e32 v9, 0x7fffffff, v7
	v_sub_u32_e32 v51, 0, v7
	v_cmp_lt_u32_e32 vcc, v6, v7
	v_cndmask_b32_e32 v7, v51, v9, vcc
	v_add_u32_e32 v6, v7, v6
	v_mul_hi_u32 v9, v6, s7
	v_add_u32_e32 v7, -1, v6
	v_cvt_f32_u32_e32 v7, v7
	v_lshrrev_b32_e32 v9, 15, v9
	v_mul_u32_u24_e32 v51, 0xadc8, v9
	v_sub_u32_e32 v6, v6, v51
	v_mul_lo_u32 v6, v6, s8
	v_mul_u32_u24_e32 v9, 0xd47, v9
	v_xor_b32_e32 v51, 0x7fffffff, v9
	v_sub_u32_e32 v52, 0, v9
	v_cmp_lt_u32_e32 vcc, v6, v9
	v_cndmask_b32_e32 v9, v52, v51, vcc
	v_add_u32_e32 v6, v9, v6
	v_mul_hi_u32 v51, v6, s7
	v_add_u32_e32 v9, -1, v6
	v_cvt_f32_u32_e32 v9, v9
	v_fma_f32 v7, v7, s9, 0
	v_lshrrev_b32_e32 v51, 15, v51
	v_mul_u32_u24_e32 v52, 0xadc8, v51
	v_fma_f32 v9, v9, s9, 0
	v_sub_u32_e32 v6, v6, v52
	v_mul_f32_e32 v9, v9, v9
	v_mul_lo_u32 v6, v6, s8
	v_fmac_f32_e32 v9, v7, v7
	v_mul_f32_e32 v7, 0x4f800000, v9
	v_cmp_gt_f32_e32 vcc, s14, v9
	v_mul_u32_u24_e32 v51, 0xd47, v51
	v_cndmask_b32_e32 v7, v9, v7, vcc
	v_xor_b32_e32 v52, 0x7fffffff, v51
	v_sub_u32_e32 v53, 0, v51
	v_sqrt_f32_e32 v9, v7
	v_cmp_lt_u32_e64 s[4:5], v6, v51
	v_cndmask_b32_e64 v51, v53, v52, s[4:5]
	v_add_u32_e32 v6, v51, v6
	v_mul_hi_u32 v52, v6, s7
	v_add_u32_e32 v53, -1, v9
	v_add_u32_e32 v54, 1, v9
	v_fma_f32 v55, -v53, v9, v7
	v_fma_f32 v64, -v54, v9, v7
	v_cmp_ge_f32_e64 s[4:5], 0, v55
	v_cndmask_b32_e64 v9, v9, v53, s[4:5]
	v_cmp_lt_f32_e64 s[4:5], 0, v64
	v_lshrrev_b32_e32 v52, 15, v52
	v_cndmask_b32_e64 v9, v9, v54, s[4:5]
	v_mul_u32_u24_e32 v54, 0xadc8, v52
	v_add_u32_e32 v51, -1, v6
	v_sub_u32_e32 v6, v6, v54
	v_mul_f32_e32 v53, 0x37800000, v9
	v_mul_lo_u32 v6, v6, s8
	v_cndmask_b32_e32 v9, v9, v53, vcc
	v_cmp_class_f32_e32 vcc, v7, v5
	v_cndmask_b32_e32 v7, v9, v7, vcc
	v_mul_u32_u24_e32 v52, 0xd47, v52
	v_cmp_nge_f32_e32 vcc, 1.0, v7
	v_xor_b32_e32 v53, 0x7fffffff, v52
	v_sub_u32_e32 v54, 0, v52
	v_cndmask_b32_e32 v7, v8, v10, vcc
	v_cmp_lt_u32_e32 vcc, v6, v52
	v_cndmask_b32_e32 v9, v54, v53, vcc
	v_add_u32_e32 v6, v9, v6
	v_add_u32_e32 v9, -1, v6
	v_cvt_f32_u32_e32 v9, v9
	v_cvt_f32_u32_e32 v51, v51
	v_add_f32_e32 v8, 1.0, v7
	v_fma_f32 v9, v9, s9, 0
	v_fma_f32 v51, v51, s9, 0
	v_mul_f32_e32 v9, v9, v9
	v_fmac_f32_e32 v9, v51, v51
	v_mul_f32_e32 v10, 0x4f800000, v9
	v_cmp_gt_f32_e32 vcc, s14, v9
	v_cndmask_b32_e32 v9, v9, v10, vcc
	v_sqrt_f32_e32 v10, v9
	v_add_u32_e32 v51, -1, v10
	v_add_u32_e32 v52, 1, v10
	v_fma_f32 v53, -v51, v10, v9
	v_fma_f32 v54, -v52, v10, v9
	v_cmp_ge_f32_e64 s[4:5], 0, v53
	v_cndmask_b32_e64 v10, v10, v51, s[4:5]
	v_cmp_lt_f32_e64 s[4:5], 0, v54
	v_cndmask_b32_e64 v10, v10, v52, s[4:5]
	v_mul_f32_e32 v51, 0x37800000, v10
	v_cndmask_b32_e32 v10, v10, v51, vcc
	v_cmp_class_f32_e32 vcc, v9, v5
	v_cndmask_b32_e32 v9, v10, v9, vcc
	v_cmp_nge_f32_e32 vcc, 1.0, v9
	v_cndmask_b32_e32 v10, v8, v7, vcc
	s_cbranch_scc1 .LBB31_581
; %bb.582:
	v_add_u32_e32 v4, 0x25d7800, v4
	v_cmp_ne_u32_e32 vcc, 0, v4
	v_mov_b32_e32 v6, 1
	s_and_saveexec_b64 s[4:5], vcc
	s_cbranch_execz .LBB31_588
; %bb.583:
	v_mov_b32_e32 v5, 0
	v_mov_b32_e32 v8, 1
	;; [unrolled: 1-line block ×3, first 2 shown]
	s_mov_b64 s[8:9], 0xbc8f
	v_mov_b32_e32 v9, 0
	s_mov_b64 s[6:7], 0
	s_brev_b32 s17, -2
	v_mov_b32_e32 v6, v4
	s_branch .LBB31_585
.LBB31_584:                             ;   in Loop: Header=BB31_585 Depth=1
	s_or_b64 exec, exec, s[14:15]
	s_mul_i32 s9, s8, s9
	s_mul_hi_u32 s14, s8, s8
	s_add_i32 s14, s14, s9
	s_add_i32 s14, s14, s9
	s_mul_i32 s15, s8, s8
	s_mul_i32 s9, s14, 3
	s_mul_hi_u32 s18, s15, 3
	s_mul_hi_u32 s8, s14, 3
	s_add_u32 s9, s9, s18
	s_addc_u32 s8, s8, 0
	s_mul_i32 s19, s15, 0x80000001
	s_mul_hi_u32 s18, s15, 0x80000001
	s_add_u32 s9, s19, s9
	s_addc_u32 s9, s18, 0
	s_add_u32 s8, s8, s9
	s_addc_u32 s9, 0, 0
	s_mul_i32 s19, s14, 0x80000001
	s_mul_hi_u32 s18, s14, 0x80000001
	s_add_u32 s8, s19, s8
	s_addc_u32 s9, s18, s9
	s_lshr_b32 s18, s9, 30
	s_lshr_b64 s[8:9], s[8:9], 30
	s_mul_i32 s18, s18, 0x7fffffff
	s_mul_hi_u32 s9, s8, 0x7fffffff
	v_lshrrev_b64 v[51:52], 1, v[6:7]
	s_add_i32 s9, s9, s18
	s_mul_i32 s8, s8, 0x7fffffff
	s_sub_u32 s8, s15, s8
	v_cmp_gt_u64_e32 vcc, 2, v[6:7]
	s_subb_u32 s9, s14, s9
	v_mov_b32_e32 v6, v51
	s_or_b64 s[6:7], vcc, s[6:7]
	v_mov_b32_e32 v7, v52
	s_andn2_b64 exec, exec, s[6:7]
	s_cbranch_execz .LBB31_587
.LBB31_585:                             ; =>This Inner Loop Header: Depth=1
	v_and_b32_e32 v4, 1, v6
	v_cmp_eq_u32_e32 vcc, 1, v4
	s_and_saveexec_b64 s[14:15], vcc
	s_cbranch_execz .LBB31_584
; %bb.586:                              ;   in Loop: Header=BB31_585 Depth=1
	v_mad_u64_u32 v[51:52], s[18:19], s8, v8, 0
	v_mul_lo_u32 v8, s9, v8
	v_mul_lo_u32 v9, s8, v9
	v_mul_hi_u32 v4, v51, 5
	v_add3_u32 v54, v52, v9, v8
	v_mad_u64_u32 v[8:9], s[18:19], v54, 5, v[4:5]
	v_mov_b32_e32 v4, v8
	v_mad_u64_u32 v[52:53], s[18:19], v51, 2, v[4:5]
	v_add_co_u32_e32 v8, vcc, v9, v53
	v_addc_co_u32_e64 v9, s[18:19], 0, 0, vcc
	v_mad_u64_u32 v[8:9], s[18:19], v54, 2, v[8:9]
	v_sub_co_u32_e32 v52, vcc, v51, v8
	v_subb_co_u32_e32 v53, vcc, v54, v9, vcc
	v_lshrrev_b64 v[52:53], 1, v[52:53]
	v_add_co_u32_e32 v4, vcc, v52, v8
	v_addc_co_u32_e32 v52, vcc, v53, v9, vcc
	v_alignbit_b32 v4, v52, v4, 30
	v_mad_u64_u32 v[8:9], s[18:19], v4, s17, 0
	v_lshrrev_b32_e32 v52, 30, v52
	v_mov_b32_e32 v4, v9
	v_mad_u64_u32 v[52:53], s[18:19], v52, s17, v[4:5]
	v_sub_co_u32_e32 v8, vcc, v51, v8
	v_subb_co_u32_e32 v9, vcc, v54, v52, vcc
	s_branch .LBB31_584
.LBB31_587:
	s_or_b64 exec, exec, s[6:7]
	v_add_u32_e32 v4, 0x80000001, v8
	v_min_u32_e32 v4, v4, v8
	v_add_u32_e32 v5, 0x80000001, v4
	v_min_u32_e32 v6, v5, v4
.LBB31_588:
	s_or_b64 exec, exec, s[4:5]
	v_mov_b32_e32 v4, 0
	s_movk_i32 s6, 0x1388
	s_mov_b32 s7, 0xbc8f1391
	s_mov_b32 s8, 0xbc8f
	s_brev_b32 s9, 12
	s_mov_b32 s14, 0xf800000
	v_mov_b32_e32 v5, 0x260
.LBB31_589:                             ; =>This Inner Loop Header: Depth=1
	v_mul_hi_u32 v7, v6, s7
	v_add_f32_e32 v8, 1.0, v4
	s_add_i32 s6, s6, -2
	s_cmp_lg_u32 s6, 0
	v_lshrrev_b32_e32 v7, 15, v7
	v_mul_u32_u24_e32 v9, 0xadc8, v7
	v_sub_u32_e32 v6, v6, v9
	v_mul_lo_u32 v6, v6, s8
	v_mul_u32_u24_e32 v7, 0xd47, v7
	v_xor_b32_e32 v9, 0x7fffffff, v7
	v_sub_u32_e32 v51, 0, v7
	v_cmp_lt_u32_e32 vcc, v6, v7
	v_cndmask_b32_e32 v7, v51, v9, vcc
	v_add_u32_e32 v6, v7, v6
	v_mul_hi_u32 v9, v6, s7
	v_add_u32_e32 v7, -1, v6
	v_cvt_f32_u32_e32 v7, v7
	v_lshrrev_b32_e32 v9, 15, v9
	v_mul_u32_u24_e32 v51, 0xadc8, v9
	v_sub_u32_e32 v6, v6, v51
	v_mul_lo_u32 v6, v6, s8
	v_mul_u32_u24_e32 v9, 0xd47, v9
	v_xor_b32_e32 v51, 0x7fffffff, v9
	v_sub_u32_e32 v52, 0, v9
	v_cmp_lt_u32_e32 vcc, v6, v9
	v_cndmask_b32_e32 v9, v52, v51, vcc
	v_add_u32_e32 v6, v9, v6
	v_mul_hi_u32 v51, v6, s7
	v_add_u32_e32 v9, -1, v6
	v_cvt_f32_u32_e32 v9, v9
	v_fma_f32 v7, v7, s9, 0
	v_lshrrev_b32_e32 v51, 15, v51
	v_mul_u32_u24_e32 v52, 0xadc8, v51
	v_fma_f32 v9, v9, s9, 0
	v_sub_u32_e32 v6, v6, v52
	v_mul_f32_e32 v9, v9, v9
	v_mul_lo_u32 v6, v6, s8
	v_fmac_f32_e32 v9, v7, v7
	v_mul_f32_e32 v7, 0x4f800000, v9
	v_cmp_gt_f32_e32 vcc, s14, v9
	v_mul_u32_u24_e32 v51, 0xd47, v51
	v_cndmask_b32_e32 v7, v9, v7, vcc
	v_xor_b32_e32 v52, 0x7fffffff, v51
	v_sub_u32_e32 v53, 0, v51
	v_sqrt_f32_e32 v9, v7
	v_cmp_lt_u32_e64 s[4:5], v6, v51
	v_cndmask_b32_e64 v51, v53, v52, s[4:5]
	v_add_u32_e32 v6, v51, v6
	v_mul_hi_u32 v52, v6, s7
	v_add_u32_e32 v53, -1, v9
	v_add_u32_e32 v54, 1, v9
	v_fma_f32 v55, -v53, v9, v7
	v_fma_f32 v64, -v54, v9, v7
	v_cmp_ge_f32_e64 s[4:5], 0, v55
	v_cndmask_b32_e64 v9, v9, v53, s[4:5]
	v_cmp_lt_f32_e64 s[4:5], 0, v64
	v_lshrrev_b32_e32 v52, 15, v52
	v_cndmask_b32_e64 v9, v9, v54, s[4:5]
	v_mul_u32_u24_e32 v54, 0xadc8, v52
	v_add_u32_e32 v51, -1, v6
	v_sub_u32_e32 v6, v6, v54
	v_mul_f32_e32 v53, 0x37800000, v9
	v_mul_lo_u32 v6, v6, s8
	v_cndmask_b32_e32 v9, v9, v53, vcc
	v_cmp_class_f32_e32 vcc, v7, v5
	v_cndmask_b32_e32 v7, v9, v7, vcc
	v_mul_u32_u24_e32 v52, 0xd47, v52
	v_cmp_nge_f32_e32 vcc, 1.0, v7
	v_xor_b32_e32 v53, 0x7fffffff, v52
	v_sub_u32_e32 v54, 0, v52
	v_cndmask_b32_e32 v4, v8, v4, vcc
	v_cmp_lt_u32_e32 vcc, v6, v52
	v_cndmask_b32_e32 v8, v54, v53, vcc
	v_add_u32_e32 v6, v8, v6
	v_add_u32_e32 v8, -1, v6
	v_cvt_f32_u32_e32 v8, v8
	v_cvt_f32_u32_e32 v51, v51
	v_add_f32_e32 v7, 1.0, v4
	v_fma_f32 v8, v8, s9, 0
	v_fma_f32 v51, v51, s9, 0
	v_mul_f32_e32 v8, v8, v8
	v_fmac_f32_e32 v8, v51, v51
	v_mul_f32_e32 v9, 0x4f800000, v8
	v_cmp_gt_f32_e32 vcc, s14, v8
	v_cndmask_b32_e32 v8, v8, v9, vcc
	v_sqrt_f32_e32 v9, v8
	v_add_u32_e32 v51, -1, v9
	v_add_u32_e32 v52, 1, v9
	v_fma_f32 v53, -v51, v9, v8
	v_fma_f32 v54, -v52, v9, v8
	v_cmp_ge_f32_e64 s[4:5], 0, v53
	v_cndmask_b32_e64 v9, v9, v51, s[4:5]
	v_cmp_lt_f32_e64 s[4:5], 0, v54
	v_cndmask_b32_e64 v9, v9, v52, s[4:5]
	v_mul_f32_e32 v51, 0x37800000, v9
	v_cndmask_b32_e32 v9, v9, v51, vcc
	v_cmp_class_f32_e32 vcc, v8, v5
	v_cndmask_b32_e32 v8, v9, v8, vcc
	v_cmp_nge_f32_e32 vcc, 1.0, v8
	v_cndmask_b32_e32 v4, v7, v4, vcc
	s_cbranch_scc1 .LBB31_589
; %bb.590:
	v_mul_f32_e32 v5, 4.0, v10
	s_mov_b32 s14, 0x459c4000
	v_div_scale_f32 v6, s[4:5], s14, s14, v5
	v_mul_f32_e32 v7, 4.0, v50
	v_div_scale_f32 v8, s[4:5], s14, s14, v7
	v_div_scale_f32 v9, vcc, v5, s14, v5
	v_mul_f32_e32 v10, 4.0, v49
	v_div_scale_f32 v49, s[4:5], v7, s14, v7
	v_div_scale_f32 v50, s[6:7], s14, s14, v10
	;; [unrolled: 1-line block ×3, first 2 shown]
	v_mul_f32_e32 v48, 4.0, v48
	v_mul_f32_e32 v39, 4.0, v39
	v_rcp_f32_e32 v51, v6
	v_mul_f32_e32 v38, 4.0, v38
	v_mul_f32_e32 v37, 4.0, v37
	v_rcp_f32_e32 v52, v8
	v_fma_f32 v54, -v6, v51, 1.0
	v_fmac_f32_e32 v51, v54, v51
	v_mul_f32_e32 v54, v9, v51
	v_fma_f32 v64, -v6, v54, v9
	v_fmac_f32_e32 v54, v64, v51
	v_fma_f32 v55, -v8, v52, 1.0
	v_fma_f32 v6, -v6, v54, v9
	v_div_scale_f32 v9, s[8:9], s14, s14, v48
	v_fmac_f32_e32 v52, v55, v52
	v_div_fmas_f32 v6, v6, v51, v54
	v_mul_f32_e32 v51, v49, v52
	v_fma_f32 v54, -v8, v51, v49
	v_fmac_f32_e32 v51, v54, v52
	v_fma_f32 v8, -v8, v51, v49
	s_mov_b64 vcc, s[4:5]
	v_div_fmas_f32 v8, v8, v52, v51
	v_div_scale_f32 v52, s[4:5], v48, s14, v48
	v_rcp_f32_e32 v54, v50
	v_div_scale_f32 v55, s[8:9], s14, s14, v39
	s_mov_b64 vcc, s[6:7]
	v_fma_f32 v49, -v50, v54, 1.0
	v_fmac_f32_e32 v54, v49, v54
	v_mul_f32_e32 v49, v53, v54
	v_fma_f32 v51, -v50, v49, v53
	v_fmac_f32_e32 v49, v51, v54
	v_rcp_f32_e32 v51, v9
	v_fma_f32 v50, -v50, v49, v53
	v_div_scale_f32 v53, s[6:7], v39, s14, v39
	v_div_fmas_f32 v49, v50, v54, v49
	v_div_scale_f32 v54, s[8:9], s14, s14, v38
	v_fma_f32 v50, -v9, v51, 1.0
	v_fmac_f32_e32 v51, v50, v51
	v_mul_f32_e32 v50, v52, v51
	v_fma_f32 v64, -v9, v50, v52
	v_fmac_f32_e32 v50, v64, v51
	v_div_scale_f32 v64, s[8:9], v38, s14, v38
	v_rcp_f32_e32 v65, v55
	v_fma_f32 v9, -v9, v50, v52
	s_mov_b64 vcc, s[4:5]
	v_div_fmas_f32 v9, v9, v51, v50
	v_fma_f32 v50, -v55, v65, 1.0
	v_fmac_f32_e32 v65, v50, v65
	v_mul_f32_e32 v50, v53, v65
	v_fma_f32 v51, -v55, v50, v53
	v_fmac_f32_e32 v50, v51, v65
	v_rcp_f32_e32 v51, v54
	v_fma_f32 v52, -v55, v50, v53
	s_mov_b64 vcc, s[6:7]
	v_div_fmas_f32 v50, v52, v65, v50
	v_fma_f32 v52, -v54, v51, 1.0
	v_fmac_f32_e32 v51, v52, v51
	v_mul_f32_e32 v52, v64, v51
	v_fma_f32 v53, -v54, v52, v64
	v_fmac_f32_e32 v52, v53, v51
	v_div_scale_f32 v53, s[4:5], s14, s14, v37
	v_fma_f32 v54, -v54, v52, v64
	s_mov_b64 vcc, s[8:9]
	v_div_fmas_f32 v51, v54, v51, v52
	v_div_scale_f32 v52, vcc, v37, s14, v37
	v_mul_f32_e32 v36, 4.0, v36
	v_div_scale_f32 v54, s[4:5], s14, s14, v36
	v_div_fixup_f32 v5, v6, s14, v5
	v_div_fixup_f32 v6, v8, s14, v7
	;; [unrolled: 1-line block ×4, first 2 shown]
	v_div_scale_f32 v39, s[4:5], v36, s14, v36
	v_div_fixup_f32 v7, v49, s14, v10
	v_rcp_f32_e32 v49, v53
	v_mul_f32_e32 v35, 4.0, v35
	v_div_scale_f32 v50, s[6:7], s14, s14, v35
	v_div_fixup_f32 v10, v51, s14, v38
	v_fma_f32 v38, -v53, v49, 1.0
	v_fmac_f32_e32 v49, v38, v49
	v_mul_f32_e32 v38, v52, v49
	v_fma_f32 v48, -v53, v38, v52
	v_fmac_f32_e32 v38, v48, v49
	v_rcp_f32_e32 v48, v54
	v_fma_f32 v51, -v53, v38, v52
	v_div_fmas_f32 v38, v51, v49, v38
	v_div_scale_f32 v51, s[6:7], v35, s14, v35
	v_fma_f32 v49, -v54, v48, 1.0
	v_fmac_f32_e32 v48, v49, v48
	v_mul_f32_e32 v49, v39, v48
	v_fma_f32 v52, -v54, v49, v39
	v_mul_f32_e32 v34, 4.0, v34
	v_fmac_f32_e32 v49, v52, v48
	v_div_scale_f32 v52, s[8:9], s14, s14, v34
	v_fma_f32 v39, -v54, v49, v39
	s_mov_b64 vcc, s[4:5]
	v_div_fmas_f32 v39, v39, v48, v49
	v_div_scale_f32 v49, s[4:5], v34, s14, v34
	v_rcp_f32_e32 v53, v50
	v_mul_f32_e32 v33, 4.0, v33
	v_div_scale_f32 v55, s[8:9], s14, s14, v33
	v_fma_f32 v48, -v50, v53, 1.0
	v_fmac_f32_e32 v53, v48, v53
	v_mul_f32_e32 v48, v51, v53
	v_fma_f32 v54, -v50, v48, v51
	v_fmac_f32_e32 v48, v54, v53
	v_fma_f32 v50, -v50, v48, v51
	v_rcp_f32_e32 v51, v52
	s_mov_b64 vcc, s[6:7]
	v_div_fmas_f32 v48, v50, v53, v48
	v_div_scale_f32 v54, s[8:9], v33, s14, v33
	v_fma_f32 v50, -v52, v51, 1.0
	v_fmac_f32_e32 v51, v50, v51
	v_mul_f32_e32 v50, v49, v51
	v_fma_f32 v53, -v52, v50, v49
	v_mul_f32_e32 v32, 4.0, v32
	v_fmac_f32_e32 v50, v53, v51
	v_div_scale_f32 v53, s[6:7], s14, s14, v32
	v_fma_f32 v49, -v52, v50, v49
	s_mov_b64 vcc, s[4:5]
	v_div_scale_f32 v52, s[4:5], v32, s14, v32
	v_rcp_f32_e32 v64, v55
	v_mul_f32_e32 v31, 4.0, v31
	v_div_fmas_f32 v49, v49, v51, v50
	v_div_scale_f32 v65, s[6:7], s14, s14, v31
	v_fma_f32 v50, -v55, v64, 1.0
	v_fmac_f32_e32 v64, v50, v64
	v_mul_f32_e32 v50, v54, v64
	v_fma_f32 v51, -v55, v50, v54
	v_fmac_f32_e32 v50, v51, v64
	v_fma_f32 v51, -v55, v50, v54
	v_rcp_f32_e32 v54, v53
	v_div_scale_f32 v55, s[6:7], v31, s14, v31
	s_mov_b64 vcc, s[8:9]
	v_mul_f32_e32 v30, 4.0, v30
	v_div_fmas_f32 v50, v51, v64, v50
	v_fma_f32 v51, -v53, v54, 1.0
	v_div_scale_f32 v64, s[8:9], s14, s14, v30
	v_fmac_f32_e32 v54, v51, v54
	v_mul_f32_e32 v51, v52, v54
	v_fma_f32 v66, -v53, v51, v52
	v_fmac_f32_e32 v51, v66, v54
	v_fma_f32 v52, -v53, v51, v52
	s_mov_b64 vcc, s[4:5]
	v_div_fmas_f32 v51, v52, v54, v51
	v_div_scale_f32 v54, s[4:5], v30, s14, v30
	v_rcp_f32_e32 v66, v65
	v_mul_f32_e32 v29, 4.0, v29
	v_div_scale_f32 v67, s[8:9], s14, s14, v29
	v_fma_f32 v52, -v65, v66, 1.0
	v_fmac_f32_e32 v66, v52, v66
	v_mul_f32_e32 v52, v55, v66
	v_fma_f32 v53, -v65, v52, v55
	v_fmac_f32_e32 v52, v53, v66
	v_rcp_f32_e32 v53, v64
	v_fma_f32 v55, -v65, v52, v55
	s_mov_b64 vcc, s[6:7]
	v_div_scale_f32 v65, s[6:7], v29, s14, v29
	v_mul_f32_e32 v28, 4.0, v28
	v_div_fmas_f32 v52, v55, v66, v52
	v_div_scale_f32 v66, s[8:9], s14, s14, v28
	v_fma_f32 v55, -v64, v53, 1.0
	v_fmac_f32_e32 v53, v55, v53
	v_mul_f32_e32 v55, v54, v53
	v_fma_f32 v68, -v64, v55, v54
	v_fmac_f32_e32 v55, v68, v53
	v_div_scale_f32 v68, s[8:9], v28, s14, v28
	v_rcp_f32_e32 v69, v67
	v_fma_f32 v54, -v64, v55, v54
	s_mov_b64 vcc, s[4:5]
	v_div_fmas_f32 v53, v54, v53, v55
	v_fma_f32 v54, -v67, v69, 1.0
	v_fmac_f32_e32 v69, v54, v69
	v_mul_f32_e32 v54, v65, v69
	v_fma_f32 v55, -v67, v54, v65
	v_fmac_f32_e32 v54, v55, v69
	v_rcp_f32_e32 v55, v66
	v_fma_f32 v64, -v67, v54, v65
	s_mov_b64 vcc, s[6:7]
	v_div_fmas_f32 v54, v64, v69, v54
	v_fma_f32 v64, -v66, v55, 1.0
	v_fmac_f32_e32 v55, v64, v55
	v_mul_f32_e32 v64, v68, v55
	v_fma_f32 v65, -v66, v64, v68
	v_mul_f32_e32 v27, 4.0, v27
	v_fmac_f32_e32 v64, v65, v55
	v_div_scale_f32 v65, s[4:5], s14, s14, v27
	v_fma_f32 v66, -v66, v64, v68
	s_mov_b64 vcc, s[8:9]
	v_div_fmas_f32 v55, v66, v55, v64
	v_div_fixup_f32 v37, v38, s14, v37
	v_div_scale_f32 v38, vcc, v27, s14, v27
	v_mul_f32_e32 v26, 4.0, v26
	v_div_fixup_f32 v36, v39, s14, v36
	v_div_scale_f32 v39, s[4:5], s14, s14, v26
	v_div_fixup_f32 v33, v50, s14, v33
	v_div_scale_f32 v50, s[4:5], v26, s14, v26
	v_div_fixup_f32 v35, v48, s14, v35
	v_rcp_f32_e32 v48, v65
	v_mul_f32_e32 v25, 4.0, v25
	v_div_fixup_f32 v34, v49, s14, v34
	v_div_fixup_f32 v31, v52, s14, v31
	v_fma_f32 v49, -v65, v48, 1.0
	v_div_scale_f32 v52, s[6:7], s14, s14, v25
	v_fmac_f32_e32 v48, v49, v48
	v_mul_f32_e32 v49, v38, v48
	v_div_fixup_f32 v32, v51, s14, v32
	v_fma_f32 v51, -v65, v49, v38
	v_fmac_f32_e32 v49, v51, v48
	v_rcp_f32_e32 v51, v39
	v_fma_f32 v38, -v65, v49, v38
	v_div_fmas_f32 v38, v38, v48, v49
	v_div_scale_f32 v49, s[6:7], v25, s14, v25
	v_mul_f32_e32 v24, 4.0, v24
	v_div_fixup_f32 v29, v54, s14, v29
	v_div_scale_f32 v54, s[8:9], s14, s14, v24
	v_fma_f32 v48, -v39, v51, 1.0
	v_fmac_f32_e32 v51, v48, v51
	v_mul_f32_e32 v48, v50, v51
	v_div_fixup_f32 v30, v53, s14, v30
	v_fma_f32 v53, -v39, v48, v50
	v_fmac_f32_e32 v48, v53, v51
	v_fma_f32 v39, -v39, v48, v50
	s_mov_b64 vcc, s[4:5]
	v_div_scale_f32 v50, s[4:5], v24, s14, v24
	v_rcp_f32_e32 v53, v52
	v_mul_f32_e32 v23, 4.0, v23
	v_div_fixup_f32 v28, v55, s14, v28
	v_div_fmas_f32 v39, v39, v51, v48
	v_fma_f32 v48, -v52, v53, 1.0
	v_div_scale_f32 v55, s[8:9], s14, s14, v23
	v_fmac_f32_e32 v53, v48, v53
	v_mul_f32_e32 v48, v49, v53
	v_fma_f32 v51, -v52, v48, v49
	v_fmac_f32_e32 v48, v51, v53
	v_rcp_f32_e32 v51, v54
	v_fma_f32 v49, -v52, v48, v49
	s_mov_b64 vcc, s[6:7]
	v_div_scale_f32 v52, s[6:7], v23, s14, v23
	v_mul_f32_e32 v22, 4.0, v22
	v_div_fmas_f32 v48, v49, v53, v48
	v_fma_f32 v49, -v54, v51, 1.0
	v_div_scale_f32 v64, s[8:9], s14, s14, v22
	v_fmac_f32_e32 v51, v49, v51
	v_mul_f32_e32 v49, v50, v51
	v_fma_f32 v53, -v54, v49, v50
	v_fmac_f32_e32 v49, v53, v51
	v_fma_f32 v50, -v54, v49, v50
	s_mov_b64 vcc, s[4:5]
	v_div_fmas_f32 v49, v50, v51, v49
	v_div_scale_f32 v51, s[4:5], v22, s14, v22
	v_rcp_f32_e32 v53, v55
	v_mul_f32_e32 v21, 4.0, v21
	v_div_scale_f32 v65, s[8:9], s14, s14, v21
	v_fma_f32 v50, -v55, v53, 1.0
	v_fmac_f32_e32 v53, v50, v53
	v_mul_f32_e32 v50, v52, v53
	v_fma_f32 v54, -v55, v50, v52
	v_fmac_f32_e32 v50, v54, v53
	v_rcp_f32_e32 v54, v64
	v_fma_f32 v52, -v55, v50, v52
	s_mov_b64 vcc, s[6:7]
	v_div_fmas_f32 v50, v52, v53, v50
	v_div_scale_f32 v53, s[6:7], v21, s14, v21
	v_mul_f32_e32 v20, 4.0, v20
	v_fma_f32 v52, -v64, v54, 1.0
	v_div_scale_f32 v66, s[8:9], s14, s14, v20
	v_fmac_f32_e32 v54, v52, v54
	v_mul_f32_e32 v52, v51, v54
	v_fma_f32 v55, -v64, v52, v51
	v_fmac_f32_e32 v52, v55, v54
	v_fma_f32 v51, -v64, v52, v51
	s_mov_b64 vcc, s[4:5]
	v_div_fmas_f32 v51, v51, v54, v52
	v_div_scale_f32 v54, s[4:5], v20, s14, v20
	v_rcp_f32_e32 v55, v65
	v_mul_f32_e32 v19, 4.0, v19
	v_div_scale_f32 v67, s[8:9], s14, s14, v19
	v_fma_f32 v52, -v65, v55, 1.0
	v_fmac_f32_e32 v55, v52, v55
	v_mul_f32_e32 v52, v53, v55
	v_fma_f32 v64, -v65, v52, v53
	v_fmac_f32_e32 v52, v64, v55
	v_rcp_f32_e32 v64, v66
	v_fma_f32 v53, -v65, v52, v53
	s_mov_b64 vcc, s[6:7]
	v_div_fmas_f32 v52, v53, v55, v52
	v_fma_f32 v53, -v66, v64, 1.0
	v_fmac_f32_e32 v64, v53, v64
	v_div_scale_f32 v55, s[6:7], v19, s14, v19
	v_mul_f32_e32 v53, v54, v64
	v_fma_f32 v65, -v66, v53, v54
	v_mul_f32_e32 v18, 4.0, v18
	v_fmac_f32_e32 v53, v65, v64
	v_div_scale_f32 v65, s[8:9], s14, s14, v18
	v_fma_f32 v54, -v66, v53, v54
	s_mov_b64 vcc, s[4:5]
	v_div_fmas_f32 v53, v54, v64, v53
	v_div_scale_f32 v64, s[4:5], v18, s14, v18
	v_rcp_f32_e32 v68, v67
	v_mul_f32_e32 v17, 4.0, v17
	v_div_scale_f32 v69, s[8:9], s14, s14, v17
	v_fma_f32 v54, -v67, v68, 1.0
	v_fmac_f32_e32 v68, v54, v68
	v_mul_f32_e32 v54, v55, v68
	v_fma_f32 v66, -v67, v54, v55
	v_fmac_f32_e32 v54, v66, v68
	v_rcp_f32_e32 v66, v65
	v_fma_f32 v55, -v67, v54, v55
	v_div_scale_f32 v67, s[8:9], v17, s14, v17
	s_mov_b64 vcc, s[6:7]
	v_div_fmas_f32 v54, v55, v68, v54
	v_fma_f32 v55, -v65, v66, 1.0
	v_fmac_f32_e32 v66, v55, v66
	v_mul_f32_e32 v55, v64, v66
	v_fma_f32 v68, -v65, v55, v64
	v_mul_f32_e32 v16, 4.0, v16
	v_fmac_f32_e32 v55, v68, v66
	v_div_scale_f32 v68, s[6:7], s14, s14, v16
	v_rcp_f32_e32 v70, v69
	v_fma_f32 v64, -v65, v55, v64
	s_mov_b64 vcc, s[4:5]
	v_div_fmas_f32 v55, v64, v66, v55
	v_div_scale_f32 v66, s[4:5], v16, s14, v16
	v_mul_f32_e32 v15, 4.0, v15
	v_div_scale_f32 v71, s[6:7], s14, s14, v15
	v_fma_f32 v64, -v69, v70, 1.0
	v_fmac_f32_e32 v70, v64, v70
	v_mul_f32_e32 v64, v67, v70
	v_fma_f32 v65, -v69, v64, v67
	v_fmac_f32_e32 v64, v65, v70
	v_fma_f32 v65, -v69, v64, v67
	v_div_scale_f32 v69, s[6:7], v15, s14, v15
	v_rcp_f32_e32 v67, v68
	s_mov_b64 vcc, s[8:9]
	v_div_fmas_f32 v64, v65, v70, v64
	v_mul_f32_e32 v14, 4.0, v14
	v_fma_f32 v65, -v68, v67, 1.0
	v_div_scale_f32 v70, s[8:9], s14, s14, v14
	v_fmac_f32_e32 v67, v65, v67
	v_mul_f32_e32 v65, v66, v67
	v_fma_f32 v80, -v68, v65, v66
	v_fmac_f32_e32 v65, v80, v67
	v_rcp_f32_e32 v80, v71
	v_mul_f32_e32 v13, 4.0, v13
	v_fma_f32 v66, -v68, v65, v66
	s_mov_b64 vcc, s[4:5]
	v_div_scale_f32 v68, s[4:5], v14, s14, v14
	v_div_scale_f32 v81, s[8:9], s14, s14, v13
	v_div_fmas_f32 v65, v66, v67, v65
	v_fma_f32 v66, -v71, v80, 1.0
	v_fmac_f32_e32 v80, v66, v80
	v_mul_f32_e32 v66, v69, v80
	v_fma_f32 v67, -v71, v66, v69
	v_fmac_f32_e32 v66, v67, v80
	v_fma_f32 v69, -v71, v66, v69
	s_mov_b64 vcc, s[6:7]
	v_div_scale_f32 v71, s[6:7], v13, s14, v13
	v_rcp_f32_e32 v67, v70
	v_div_fmas_f32 v66, v69, v80, v66
	s_mov_b64 vcc, s[4:5]
	v_mul_f32_e32 v4, 4.0, v4
	v_fma_f32 v69, -v70, v67, 1.0
	v_fmac_f32_e32 v67, v69, v67
	v_mul_f32_e32 v69, v68, v67
	v_rcp_f32_e32 v83, v81
	v_fma_f32 v82, -v70, v69, v68
	v_fmac_f32_e32 v69, v82, v67
	v_fma_f32 v68, -v70, v69, v68
	v_div_fmas_f32 v67, v68, v67, v69
	v_fma_f32 v68, -v81, v83, 1.0
	v_fmac_f32_e32 v83, v68, v83
	v_mul_f32_e32 v68, v71, v83
	v_fma_f32 v69, -v81, v68, v71
	v_fmac_f32_e32 v68, v69, v83
	v_fma_f32 v70, -v81, v68, v71
	s_mov_b64 vcc, s[6:7]
	v_div_fmas_f32 v68, v70, v83, v68
	v_div_scale_f32 v80, s[8:9], s14, s14, v4
	v_div_scale_f32 v82, s[8:9], v4, s14, v4
	v_div_fixup_f32 v15, v66, s14, v15
	v_div_fixup_f32 v16, v65, s14, v16
	;; [unrolled: 1-line block ×12, first 2 shown]
	v_add_f32_e32 v13, v13, v14
	v_add_f32_e32 v13, v13, v15
	;; [unrolled: 1-line block ×3, first 2 shown]
	v_rcp_f32_e32 v69, v80
	v_add_f32_e32 v13, v13, v17
	v_add_f32_e32 v13, v13, v18
	;; [unrolled: 1-line block ×4, first 2 shown]
	v_fma_f32 v70, -v80, v69, 1.0
	v_add_f32_e32 v13, v13, v21
	v_fmac_f32_e32 v69, v70, v69
	v_add_f32_e32 v13, v13, v22
	v_mul_f32_e32 v70, v82, v69
	v_add_f32_e32 v13, v13, v23
	v_fma_f32 v71, -v80, v70, v82
	v_div_fixup_f32 v25, v48, s14, v25
	v_add_f32_e32 v13, v13, v24
	v_fmac_f32_e32 v70, v71, v69
	v_div_fixup_f32 v26, v39, s14, v26
	v_add_f32_e32 v13, v13, v25
	v_fma_f32 v71, -v80, v70, v82
	s_mov_b64 vcc, s[8:9]
	v_div_fixup_f32 v27, v38, s14, v27
	v_add_f32_e32 v13, v13, v26
	v_div_fmas_f32 v69, v71, v69, v70
	v_add_f32_e32 v13, v13, v27
	v_add_f32_e32 v13, v13, v28
	;; [unrolled: 1-line block ×16, first 2 shown]
	v_div_fixup_f32 v4, v69, s14, v4
	v_add_f32_e32 v5, v6, v5
	v_add_f32_e32 v5, v5, v4
	v_mbcnt_lo_u32_b32 v4, -1, 0
	v_mbcnt_hi_u32_b32 v4, -1, v4
	v_add_f32_dpp v5, v5, v5 quad_perm:[1,0,3,2] row_mask:0xf bank_mask:0xf bound_ctrl:1
	v_lshlrev_b32_e32 v6, 2, v4
	v_or_b32_e32 v7, 0xfc, v6
	v_add_f32_dpp v5, v5, v5 quad_perm:[2,3,0,1] row_mask:0xf bank_mask:0xf bound_ctrl:1
	v_cmp_eq_u32_e32 vcc, 0, v4
	s_nop 0
	v_add_f32_dpp v5, v5, v5 row_ror:4 row_mask:0xf bank_mask:0xf bound_ctrl:1
	s_nop 1
	v_add_f32_dpp v5, v5, v5 row_ror:8 row_mask:0xf bank_mask:0xf bound_ctrl:1
	s_nop 1
	v_add_f32_dpp v5, v5, v5 row_bcast:15 row_mask:0xf bank_mask:0xf bound_ctrl:1
	s_nop 1
	v_add_f32_dpp v5, v5, v5 row_bcast:31 row_mask:0xf bank_mask:0xf bound_ctrl:1
	ds_bpermute_b32 v5, v7, v5
	s_and_saveexec_b64 s[4:5], vcc
	s_cbranch_execz .LBB31_592
; %bb.591:
	v_lshrrev_b32_e32 v7, 4, v12
	v_and_b32_e32 v7, 60, v7
	s_waitcnt lgkmcnt(0)
	ds_write_b32 v7, v5 offset:48
.LBB31_592:
	s_or_b64 exec, exec, s[4:5]
	v_cmp_gt_u32_e32 vcc, 64, v12
	s_waitcnt lgkmcnt(0)
	s_barrier
	s_and_saveexec_b64 s[4:5], vcc
	s_cbranch_execz .LBB31_594
; %bb.593:
	v_and_b32_e32 v5, 3, v4
	v_lshlrev_b32_e32 v7, 2, v5
	ds_read_b32 v7, v7 offset:48
	v_cmp_ne_u32_e32 vcc, 3, v5
	v_addc_co_u32_e32 v4, vcc, 0, v4, vcc
	v_lshlrev_b32_e32 v4, 2, v4
	s_waitcnt lgkmcnt(0)
	ds_bpermute_b32 v4, v4, v7
	v_or_b32_e32 v5, 8, v6
	s_waitcnt lgkmcnt(0)
	v_add_f32_e32 v4, v7, v4
	ds_bpermute_b32 v5, v5, v4
	s_waitcnt lgkmcnt(0)
	v_add_f32_e32 v5, v4, v5
.LBB31_594:
	s_or_b64 exec, exec, s[4:5]
                                        ; implicit-def: $vgpr13
	s_andn2_saveexec_b64 s[50:51], s[10:11]
	s_cbranch_execz .LBB31_28
.LBB31_595:
	v_subrev_u32_e32 v10, s16, v0
	v_cmp_lt_u32_e32 vcc, v12, v10
                                        ; implicit-def: $vgpr14
	s_and_saveexec_b64 s[6:7], vcc
	s_cbranch_execz .LBB31_654
; %bb.596:
	v_add_u32_e32 v4, v13, v12
	s_movk_i32 s4, 0x1388
	v_mul_lo_u32 v4, v4, s4
	v_mov_b32_e32 v6, 1
	v_cmp_ne_u32_e32 vcc, 0, v4
	s_and_saveexec_b64 s[4:5], vcc
	s_cbranch_execz .LBB31_651
; %bb.597:
	v_mov_b32_e32 v5, 0
	v_mov_b32_e32 v8, 1
	;; [unrolled: 1-line block ×3, first 2 shown]
	s_mov_b64 s[10:11], 0xbc8f
	v_mov_b32_e32 v9, 0
	s_mov_b64 s[8:9], 0
	s_brev_b32 s16, -2
	v_mov_b32_e32 v6, v4
	s_branch .LBB31_599
.LBB31_598:                             ;   in Loop: Header=BB31_599 Depth=1
	s_or_b64 exec, exec, s[14:15]
	s_mul_i32 s11, s10, s11
	s_mul_hi_u32 s14, s10, s10
	s_add_i32 s14, s14, s11
	s_add_i32 s14, s14, s11
	s_mul_i32 s15, s10, s10
	s_mul_i32 s11, s14, 3
	s_mul_hi_u32 s17, s15, 3
	s_mul_hi_u32 s10, s14, 3
	s_add_u32 s11, s11, s17
	s_addc_u32 s10, s10, 0
	s_mul_i32 s18, s15, 0x80000001
	s_mul_hi_u32 s17, s15, 0x80000001
	s_add_u32 s11, s18, s11
	s_addc_u32 s11, s17, 0
	s_add_u32 s10, s10, s11
	s_addc_u32 s11, 0, 0
	s_mul_i32 s18, s14, 0x80000001
	s_mul_hi_u32 s17, s14, 0x80000001
	s_add_u32 s10, s18, s10
	s_addc_u32 s11, s17, s11
	s_lshr_b32 s17, s11, 30
	s_lshr_b64 s[10:11], s[10:11], 30
	s_mul_i32 s17, s17, 0x7fffffff
	s_mul_hi_u32 s11, s10, 0x7fffffff
	v_lshrrev_b64 v[14:15], 1, v[6:7]
	s_add_i32 s11, s11, s17
	s_mul_i32 s10, s10, 0x7fffffff
	s_sub_u32 s10, s15, s10
	v_cmp_gt_u64_e32 vcc, 2, v[6:7]
	s_subb_u32 s11, s14, s11
	v_mov_b32_e32 v6, v14
	s_or_b64 s[8:9], vcc, s[8:9]
	v_mov_b32_e32 v7, v15
	s_andn2_b64 exec, exec, s[8:9]
	s_cbranch_execz .LBB31_650
.LBB31_599:                             ; =>This Inner Loop Header: Depth=1
	v_and_b32_e32 v4, 1, v6
	v_cmp_eq_u32_e32 vcc, 1, v4
	s_and_saveexec_b64 s[14:15], vcc
	s_cbranch_execz .LBB31_598
; %bb.600:                              ;   in Loop: Header=BB31_599 Depth=1
	v_mad_u64_u32 v[14:15], s[18:19], s10, v8, 0
	v_mul_lo_u32 v8, s11, v8
	v_mul_lo_u32 v9, s10, v9
	v_mul_hi_u32 v4, v14, 5
	v_add3_u32 v17, v15, v9, v8
	v_mad_u64_u32 v[8:9], s[18:19], v17, 5, v[4:5]
	v_mov_b32_e32 v4, v8
	v_mad_u64_u32 v[15:16], s[18:19], v14, 2, v[4:5]
	v_add_co_u32_e32 v8, vcc, v9, v16
	v_addc_co_u32_e64 v9, s[18:19], 0, 0, vcc
	v_mad_u64_u32 v[8:9], s[18:19], v17, 2, v[8:9]
	v_sub_co_u32_e32 v15, vcc, v14, v8
	v_subb_co_u32_e32 v16, vcc, v17, v9, vcc
	v_lshrrev_b64 v[15:16], 1, v[15:16]
	v_add_co_u32_e32 v4, vcc, v15, v8
	v_addc_co_u32_e32 v15, vcc, v16, v9, vcc
	v_alignbit_b32 v4, v15, v4, 30
	v_mad_u64_u32 v[8:9], s[18:19], v4, s16, 0
	v_lshrrev_b32_e32 v15, 30, v15
	v_mov_b32_e32 v4, v9
	v_mad_u64_u32 v[15:16], s[18:19], v15, s16, v[4:5]
	v_sub_co_u32_e32 v8, vcc, v14, v8
	v_subb_co_u32_e32 v9, vcc, v17, v15, vcc
	s_branch .LBB31_598
.LBB31_601:
	s_or_b64 exec, exec, s[14:15]
	v_add_u32_e32 v6, 0x80000001, v10
	v_min_u32_e32 v6, v6, v10
	v_add_u32_e32 v7, 0x80000001, v6
	v_min_u32_e32 v8, v7, v6
.LBB31_602:
	s_or_b64 exec, exec, s[4:5]
	v_mov_b32_e32 v7, 0
	s_movk_i32 s14, 0x1388
	s_mov_b32 s15, 0xbc8f1391
	s_mov_b32 s16, 0xbc8f
	s_brev_b32 s17, 12
	s_mov_b32 s18, 0xf800000
	v_mov_b32_e32 v6, 0x260
.LBB31_603:                             ; =>This Inner Loop Header: Depth=1
	v_mul_hi_u32 v9, v8, s15
	v_add_f32_e32 v10, 1.0, v7
	s_add_i32 s14, s14, -2
	s_cmp_lg_u32 s14, 0
	v_lshrrev_b32_e32 v9, 15, v9
	v_mul_u32_u24_e32 v11, 0xadc8, v9
	v_sub_u32_e32 v8, v8, v11
	v_mul_lo_u32 v8, v8, s16
	v_mul_u32_u24_e32 v9, 0xd47, v9
	v_xor_b32_e32 v11, 0x7fffffff, v9
	v_sub_u32_e32 v15, 0, v9
	v_cmp_lt_u32_e32 vcc, v8, v9
	v_cndmask_b32_e32 v9, v15, v11, vcc
	v_add_u32_e32 v8, v9, v8
	v_mul_hi_u32 v11, v8, s15
	v_add_u32_e32 v9, -1, v8
	v_cvt_f32_u32_e32 v9, v9
	v_lshrrev_b32_e32 v11, 15, v11
	v_mul_u32_u24_e32 v15, 0xadc8, v11
	v_sub_u32_e32 v8, v8, v15
	v_mul_lo_u32 v8, v8, s16
	v_mul_u32_u24_e32 v11, 0xd47, v11
	v_xor_b32_e32 v15, 0x7fffffff, v11
	v_sub_u32_e32 v16, 0, v11
	v_cmp_lt_u32_e32 vcc, v8, v11
	v_cndmask_b32_e32 v11, v16, v15, vcc
	v_add_u32_e32 v8, v11, v8
	v_mul_hi_u32 v15, v8, s15
	v_add_u32_e32 v11, -1, v8
	v_cvt_f32_u32_e32 v11, v11
	v_fma_f32 v9, v9, s17, 0
	v_lshrrev_b32_e32 v15, 15, v15
	v_mul_u32_u24_e32 v16, 0xadc8, v15
	v_fma_f32 v11, v11, s17, 0
	v_sub_u32_e32 v8, v8, v16
	v_mul_f32_e32 v11, v11, v11
	v_mul_lo_u32 v8, v8, s16
	v_fmac_f32_e32 v11, v9, v9
	v_mul_f32_e32 v9, 0x4f800000, v11
	v_cmp_gt_f32_e32 vcc, s18, v11
	v_mul_u32_u24_e32 v15, 0xd47, v15
	v_cndmask_b32_e32 v9, v11, v9, vcc
	v_xor_b32_e32 v16, 0x7fffffff, v15
	v_sub_u32_e32 v17, 0, v15
	v_sqrt_f32_e32 v11, v9
	v_cmp_lt_u32_e64 s[4:5], v8, v15
	v_cndmask_b32_e64 v15, v17, v16, s[4:5]
	v_add_u32_e32 v8, v15, v8
	v_mul_hi_u32 v16, v8, s15
	v_add_u32_e32 v17, -1, v11
	v_add_u32_e32 v18, 1, v11
	v_fma_f32 v19, -v17, v11, v9
	v_fma_f32 v20, -v18, v11, v9
	v_cmp_ge_f32_e64 s[4:5], 0, v19
	v_cndmask_b32_e64 v11, v11, v17, s[4:5]
	v_cmp_lt_f32_e64 s[4:5], 0, v20
	v_lshrrev_b32_e32 v16, 15, v16
	v_cndmask_b32_e64 v11, v11, v18, s[4:5]
	v_mul_u32_u24_e32 v18, 0xadc8, v16
	v_add_u32_e32 v15, -1, v8
	v_sub_u32_e32 v8, v8, v18
	v_mul_f32_e32 v17, 0x37800000, v11
	v_mul_lo_u32 v8, v8, s16
	v_cndmask_b32_e32 v11, v11, v17, vcc
	v_cmp_class_f32_e32 vcc, v9, v6
	v_cndmask_b32_e32 v9, v11, v9, vcc
	v_mul_u32_u24_e32 v16, 0xd47, v16
	v_cmp_nge_f32_e32 vcc, 1.0, v9
	v_xor_b32_e32 v17, 0x7fffffff, v16
	v_sub_u32_e32 v18, 0, v16
	v_cndmask_b32_e32 v7, v10, v7, vcc
	v_cmp_lt_u32_e32 vcc, v8, v16
	v_cndmask_b32_e32 v10, v18, v17, vcc
	v_add_u32_e32 v8, v10, v8
	v_add_u32_e32 v10, -1, v8
	v_cvt_f32_u32_e32 v10, v10
	v_cvt_f32_u32_e32 v15, v15
	v_add_f32_e32 v9, 1.0, v7
	v_fma_f32 v10, v10, s17, 0
	v_fma_f32 v15, v15, s17, 0
	v_mul_f32_e32 v10, v10, v10
	v_fmac_f32_e32 v10, v15, v15
	v_mul_f32_e32 v11, 0x4f800000, v10
	v_cmp_gt_f32_e32 vcc, s18, v10
	v_cndmask_b32_e32 v10, v10, v11, vcc
	v_sqrt_f32_e32 v11, v10
	v_add_u32_e32 v15, -1, v11
	v_add_u32_e32 v16, 1, v11
	v_fma_f32 v17, -v15, v11, v10
	v_fma_f32 v18, -v16, v11, v10
	v_cmp_ge_f32_e64 s[4:5], 0, v17
	v_cndmask_b32_e64 v11, v11, v15, s[4:5]
	v_cmp_lt_f32_e64 s[4:5], 0, v18
	v_cndmask_b32_e64 v11, v11, v16, s[4:5]
	v_mul_f32_e32 v15, 0x37800000, v11
	v_cndmask_b32_e32 v11, v11, v15, vcc
	v_cmp_class_f32_e32 vcc, v10, v6
	v_cndmask_b32_e32 v10, v11, v10, vcc
	v_cmp_nge_f32_e32 vcc, 1.0, v10
	v_cndmask_b32_e32 v7, v9, v7, vcc
	s_cbranch_scc1 .LBB31_603
; %bb.604:
	v_mul_f32_e32 v6, 4.0, v7
	s_mov_b32 s14, 0x459c4000
	v_div_scale_f32 v7, s[4:5], s14, s14, v6
	v_div_scale_f32 v8, vcc, v6, s14, v6
	v_rcp_f32_e32 v9, v7
	v_fma_f32 v10, -v7, v9, 1.0
	v_fmac_f32_e32 v9, v10, v9
	v_mul_f32_e32 v10, v8, v9
	v_fma_f32 v11, -v7, v10, v8
	v_fmac_f32_e32 v10, v11, v9
	v_fma_f32 v7, -v7, v10, v8
	v_div_fmas_f32 v7, v7, v9, v10
	v_div_fixup_f32 v7, v7, s14, v6
.LBB31_605:
	s_or_b64 exec, exec, s[10:11]
	v_mbcnt_lo_u32_b32 v6, -1, 0
	v_mbcnt_hi_u32_b32 v6, -1, v6
	v_and_b32_e32 v10, 63, v6
	v_cmp_ne_u32_e32 vcc, 63, v10
	v_addc_co_u32_e32 v8, vcc, 0, v6, vcc
	v_lshlrev_b32_e32 v8, 2, v8
	ds_bpermute_b32 v9, v8, v7
	v_min_u32_e32 v8, 0x100, v14
	v_and_b32_e32 v11, 0x3c0, v13
	v_sub_u32_e64 v11, v8, v11 clamp
	v_add_u32_e32 v14, 1, v10
	v_cmp_gt_u32_e64 s[4:5], 62, v10
	s_waitcnt lgkmcnt(0)
	v_add_f32_e32 v9, v7, v9
	v_cmp_lt_u32_e32 vcc, v14, v11
	v_cndmask_b32_e64 v14, 0, 2, s[4:5]
	v_cndmask_b32_e32 v9, v7, v9, vcc
	v_add_lshl_u32 v14, v14, v6, 2
	ds_bpermute_b32 v14, v14, v9
	v_add_u32_e32 v15, 2, v10
	v_cmp_lt_u32_e64 s[4:5], v15, v11
	v_add_u32_e32 v15, 4, v10
	s_waitcnt lgkmcnt(0)
	v_add_f32_e32 v14, v9, v14
	v_cndmask_b32_e64 v9, v9, v14, s[4:5]
	v_cmp_gt_u32_e64 s[4:5], 60, v10
	v_cndmask_b32_e64 v14, 0, 4, s[4:5]
	v_add_lshl_u32 v14, v14, v6, 2
	ds_bpermute_b32 v14, v14, v9
	v_cmp_lt_u32_e64 s[4:5], v15, v11
	v_add_u32_e32 v15, 8, v10
	s_waitcnt lgkmcnt(0)
	v_add_f32_e32 v14, v9, v14
	v_cndmask_b32_e64 v9, v9, v14, s[4:5]
	v_cmp_gt_u32_e64 s[4:5], 56, v10
	v_cndmask_b32_e64 v14, 0, 8, s[4:5]
	v_add_lshl_u32 v14, v14, v6, 2
	ds_bpermute_b32 v14, v14, v9
	;; [unrolled: 9-line block ×3, first 2 shown]
	v_cmp_lt_u32_e64 s[4:5], v15, v11
	v_add_u32_e32 v10, 32, v10
	s_waitcnt lgkmcnt(0)
	v_add_f32_e32 v14, v9, v14
	v_cndmask_b32_e64 v14, v9, v14, s[4:5]
	v_lshlrev_b32_e32 v9, 2, v6
	v_or_b32_e32 v15, 0x80, v9
	ds_bpermute_b32 v15, v15, v14
	v_cmp_lt_u32_e64 s[4:5], v10, v11
	s_waitcnt lgkmcnt(0)
	v_add_f32_e32 v15, v14, v15
	v_cndmask_b32_e64 v10, v14, v15, s[4:5]
	v_cndmask_b32_e32 v7, v7, v10, vcc
	v_cmp_eq_u32_e32 vcc, 0, v6
	s_and_saveexec_b64 s[4:5], vcc
; %bb.606:
	v_lshrrev_b32_e32 v10, 4, v13
	v_and_b32_e32 v10, 60, v10
	ds_write_b32 v10, v7 offset:96
; %bb.607:
	s_or_b64 exec, exec, s[4:5]
	v_cmp_gt_u32_e32 vcc, 4, v13
	s_waitcnt lgkmcnt(0)
	s_barrier
	s_and_saveexec_b64 s[10:11], vcc
	s_cbranch_execz .LBB31_609
; %bb.608:
	ds_read_b32 v7, v9 offset:96
	v_and_b32_e32 v10, 3, v6
	v_cmp_ne_u32_e32 vcc, 3, v10
	v_addc_co_u32_e32 v6, vcc, 0, v6, vcc
	v_lshlrev_b32_e32 v6, 2, v6
	s_waitcnt lgkmcnt(0)
	ds_bpermute_b32 v6, v6, v7
	v_add_u32_e32 v8, 63, v8
	v_lshrrev_b32_e32 v8, 6, v8
	v_add_u32_e32 v11, 1, v10
	v_cmp_lt_u32_e32 vcc, v11, v8
	s_waitcnt lgkmcnt(0)
	v_add_f32_e32 v6, v7, v6
	v_cndmask_b32_e32 v6, v7, v6, vcc
	v_or_b32_e32 v9, 8, v9
	ds_bpermute_b32 v9, v9, v6
	v_add_u32_e32 v10, 2, v10
	v_cmp_lt_u32_e64 s[4:5], v10, v8
	s_waitcnt lgkmcnt(0)
	v_add_f32_e32 v9, v6, v9
	v_cndmask_b32_e64 v6, v6, v9, s[4:5]
	v_cndmask_b32_e32 v7, v7, v6, vcc
.LBB31_609:
	s_or_b64 exec, exec, s[10:11]
	s_or_b64 exec, exec, s[8:9]
	v_cmp_eq_u32_e32 vcc, 0, v13
	s_and_b64 exec, exec, vcc
	s_cbranch_execnz .LBB31_4
	s_branch .LBB31_5
.LBB31_610:
	s_or_b64 exec, exec, s[14:15]
	v_add_u32_e32 v6, 0x80000001, v10
	v_min_u32_e32 v6, v6, v10
	v_add_u32_e32 v7, 0x80000001, v6
	v_min_u32_e32 v8, v7, v6
.LBB31_611:
	s_or_b64 exec, exec, s[4:5]
	v_mov_b32_e32 v7, 0
	s_movk_i32 s14, 0x1388
	s_mov_b32 s15, 0xbc8f1391
	s_mov_b32 s16, 0xbc8f
	s_brev_b32 s17, 12
	s_mov_b32 s18, 0xf800000
	v_mov_b32_e32 v6, 0x260
.LBB31_612:                             ; =>This Inner Loop Header: Depth=1
	v_mul_hi_u32 v9, v8, s15
	v_add_f32_e32 v10, 1.0, v7
	s_add_i32 s14, s14, -2
	s_cmp_lg_u32 s14, 0
	v_lshrrev_b32_e32 v9, 15, v9
	v_mul_u32_u24_e32 v11, 0xadc8, v9
	v_sub_u32_e32 v8, v8, v11
	v_mul_lo_u32 v8, v8, s16
	v_mul_u32_u24_e32 v9, 0xd47, v9
	v_xor_b32_e32 v11, 0x7fffffff, v9
	v_sub_u32_e32 v16, 0, v9
	v_cmp_lt_u32_e32 vcc, v8, v9
	v_cndmask_b32_e32 v9, v16, v11, vcc
	v_add_u32_e32 v8, v9, v8
	v_mul_hi_u32 v11, v8, s15
	v_add_u32_e32 v9, -1, v8
	v_cvt_f32_u32_e32 v9, v9
	v_lshrrev_b32_e32 v11, 15, v11
	v_mul_u32_u24_e32 v16, 0xadc8, v11
	v_sub_u32_e32 v8, v8, v16
	v_mul_lo_u32 v8, v8, s16
	v_mul_u32_u24_e32 v11, 0xd47, v11
	v_xor_b32_e32 v16, 0x7fffffff, v11
	v_sub_u32_e32 v17, 0, v11
	v_cmp_lt_u32_e32 vcc, v8, v11
	v_cndmask_b32_e32 v11, v17, v16, vcc
	v_add_u32_e32 v8, v11, v8
	v_mul_hi_u32 v16, v8, s15
	v_add_u32_e32 v11, -1, v8
	v_cvt_f32_u32_e32 v11, v11
	v_fma_f32 v9, v9, s17, 0
	v_lshrrev_b32_e32 v16, 15, v16
	v_mul_u32_u24_e32 v17, 0xadc8, v16
	v_fma_f32 v11, v11, s17, 0
	v_sub_u32_e32 v8, v8, v17
	v_mul_f32_e32 v11, v11, v11
	v_mul_lo_u32 v8, v8, s16
	v_fmac_f32_e32 v11, v9, v9
	v_mul_f32_e32 v9, 0x4f800000, v11
	v_cmp_gt_f32_e32 vcc, s18, v11
	v_mul_u32_u24_e32 v16, 0xd47, v16
	v_cndmask_b32_e32 v9, v11, v9, vcc
	v_xor_b32_e32 v17, 0x7fffffff, v16
	v_sub_u32_e32 v18, 0, v16
	v_sqrt_f32_e32 v11, v9
	v_cmp_lt_u32_e64 s[4:5], v8, v16
	v_cndmask_b32_e64 v16, v18, v17, s[4:5]
	v_add_u32_e32 v8, v16, v8
	v_mul_hi_u32 v17, v8, s15
	v_add_u32_e32 v18, -1, v11
	v_add_u32_e32 v19, 1, v11
	v_fma_f32 v20, -v18, v11, v9
	v_fma_f32 v21, -v19, v11, v9
	v_cmp_ge_f32_e64 s[4:5], 0, v20
	v_cndmask_b32_e64 v11, v11, v18, s[4:5]
	v_cmp_lt_f32_e64 s[4:5], 0, v21
	v_lshrrev_b32_e32 v17, 15, v17
	v_cndmask_b32_e64 v11, v11, v19, s[4:5]
	v_mul_u32_u24_e32 v19, 0xadc8, v17
	v_add_u32_e32 v16, -1, v8
	v_sub_u32_e32 v8, v8, v19
	v_mul_f32_e32 v18, 0x37800000, v11
	v_mul_lo_u32 v8, v8, s16
	v_cndmask_b32_e32 v11, v11, v18, vcc
	v_cmp_class_f32_e32 vcc, v9, v6
	v_cndmask_b32_e32 v9, v11, v9, vcc
	v_mul_u32_u24_e32 v17, 0xd47, v17
	v_cmp_nge_f32_e32 vcc, 1.0, v9
	v_xor_b32_e32 v18, 0x7fffffff, v17
	v_sub_u32_e32 v19, 0, v17
	v_cndmask_b32_e32 v7, v10, v7, vcc
	v_cmp_lt_u32_e32 vcc, v8, v17
	v_cndmask_b32_e32 v10, v19, v18, vcc
	v_add_u32_e32 v8, v10, v8
	v_add_u32_e32 v10, -1, v8
	v_cvt_f32_u32_e32 v10, v10
	v_cvt_f32_u32_e32 v16, v16
	v_add_f32_e32 v9, 1.0, v7
	v_fma_f32 v10, v10, s17, 0
	v_fma_f32 v16, v16, s17, 0
	v_mul_f32_e32 v10, v10, v10
	v_fmac_f32_e32 v10, v16, v16
	v_mul_f32_e32 v11, 0x4f800000, v10
	v_cmp_gt_f32_e32 vcc, s18, v10
	v_cndmask_b32_e32 v10, v10, v11, vcc
	v_sqrt_f32_e32 v11, v10
	v_add_u32_e32 v16, -1, v11
	v_add_u32_e32 v17, 1, v11
	v_fma_f32 v18, -v16, v11, v10
	v_fma_f32 v19, -v17, v11, v10
	v_cmp_ge_f32_e64 s[4:5], 0, v18
	v_cndmask_b32_e64 v11, v11, v16, s[4:5]
	v_cmp_lt_f32_e64 s[4:5], 0, v19
	v_cndmask_b32_e64 v11, v11, v17, s[4:5]
	v_mul_f32_e32 v16, 0x37800000, v11
	v_cndmask_b32_e32 v11, v11, v16, vcc
	v_cmp_class_f32_e32 vcc, v10, v6
	v_cndmask_b32_e32 v10, v11, v10, vcc
	v_cmp_nge_f32_e32 vcc, 1.0, v10
	v_cndmask_b32_e32 v7, v9, v7, vcc
	s_cbranch_scc1 .LBB31_612
; %bb.613:
	v_mul_f32_e32 v6, 4.0, v7
	s_mov_b32 s14, 0x459c4000
	v_div_scale_f32 v7, s[4:5], s14, s14, v6
	v_div_scale_f32 v8, vcc, v6, s14, v6
	v_rcp_f32_e32 v9, v7
	v_fma_f32 v10, -v7, v9, 1.0
	v_fmac_f32_e32 v9, v10, v9
	v_mul_f32_e32 v10, v8, v9
	v_fma_f32 v11, -v7, v10, v8
	v_fmac_f32_e32 v10, v11, v9
	v_fma_f32 v7, -v7, v10, v8
	v_div_fmas_f32 v7, v7, v9, v10
	v_div_fixup_f32 v16, v7, s14, v6
	v_mov_b32_e32 v6, 0
.LBB31_614:
	s_or_b64 exec, exec, s[6:7]
	v_add_u32_e32 v7, 0x100, v14
	v_cmp_lt_u32_e64 s[4:5], v7, v12
	s_and_saveexec_b64 s[14:15], s[4:5]
	s_cbranch_execz .LBB31_664
; %bb.615:
	v_add_u32_e32 v6, v15, v7
	s_movk_i32 s6, 0x1388
	v_mul_lo_u32 v6, v6, s6
	v_mov_b32_e32 v8, 1
	v_cmp_ne_u32_e32 vcc, 0, v6
	s_and_saveexec_b64 s[6:7], vcc
	s_cbranch_execz .LBB31_661
; %bb.616:
	v_mov_b32_e32 v7, 0
	v_mov_b32_e32 v10, 1
	;; [unrolled: 1-line block ×3, first 2 shown]
	s_mov_b64 s[18:19], 0xbc8f
	v_mov_b32_e32 v11, 0
	s_mov_b64 s[16:17], 0
	s_brev_b32 s22, -2
	v_mov_b32_e32 v8, v6
	s_branch .LBB31_618
.LBB31_617:                             ;   in Loop: Header=BB31_618 Depth=1
	s_or_b64 exec, exec, s[20:21]
	s_mul_i32 s19, s18, s19
	s_mul_hi_u32 s20, s18, s18
	s_add_i32 s20, s20, s19
	s_add_i32 s20, s20, s19
	s_mul_i32 s21, s18, s18
	s_mul_i32 s19, s20, 3
	s_mul_hi_u32 s23, s21, 3
	s_mul_hi_u32 s18, s20, 3
	s_add_u32 s19, s19, s23
	s_addc_u32 s18, s18, 0
	s_mul_i32 s24, s21, 0x80000001
	s_mul_hi_u32 s23, s21, 0x80000001
	s_add_u32 s19, s24, s19
	s_addc_u32 s19, s23, 0
	s_add_u32 s18, s18, s19
	s_addc_u32 s19, 0, 0
	s_mul_i32 s24, s20, 0x80000001
	s_mul_hi_u32 s23, s20, 0x80000001
	s_add_u32 s18, s24, s18
	s_addc_u32 s19, s23, s19
	s_lshr_b32 s23, s19, 30
	s_lshr_b64 s[18:19], s[18:19], 30
	s_mul_i32 s23, s23, 0x7fffffff
	s_mul_hi_u32 s19, s18, 0x7fffffff
	v_lshrrev_b64 v[17:18], 1, v[8:9]
	s_add_i32 s19, s19, s23
	s_mul_i32 s18, s18, 0x7fffffff
	s_sub_u32 s18, s21, s18
	v_cmp_gt_u64_e32 vcc, 2, v[8:9]
	s_subb_u32 s19, s20, s19
	v_mov_b32_e32 v8, v17
	s_or_b64 s[16:17], vcc, s[16:17]
	v_mov_b32_e32 v9, v18
	s_andn2_b64 exec, exec, s[16:17]
	s_cbranch_execz .LBB31_660
.LBB31_618:                             ; =>This Inner Loop Header: Depth=1
	v_and_b32_e32 v6, 1, v8
	v_cmp_eq_u32_e32 vcc, 1, v6
	s_and_saveexec_b64 s[20:21], vcc
	s_cbranch_execz .LBB31_617
; %bb.619:                              ;   in Loop: Header=BB31_618 Depth=1
	v_mad_u64_u32 v[17:18], s[24:25], s18, v10, 0
	v_mul_lo_u32 v10, s19, v10
	v_mul_lo_u32 v11, s18, v11
	v_mul_hi_u32 v6, v17, 5
	v_add3_u32 v15, v18, v11, v10
	v_mad_u64_u32 v[10:11], s[24:25], v15, 5, v[6:7]
	v_mov_b32_e32 v6, v10
	v_mad_u64_u32 v[18:19], s[24:25], v17, 2, v[6:7]
	v_add_co_u32_e32 v10, vcc, v11, v19
	v_addc_co_u32_e64 v11, s[24:25], 0, 0, vcc
	v_mad_u64_u32 v[10:11], s[24:25], v15, 2, v[10:11]
	v_sub_co_u32_e32 v18, vcc, v17, v10
	v_subb_co_u32_e32 v19, vcc, v15, v11, vcc
	v_lshrrev_b64 v[18:19], 1, v[18:19]
	v_add_co_u32_e32 v6, vcc, v18, v10
	v_addc_co_u32_e32 v18, vcc, v19, v11, vcc
	v_alignbit_b32 v6, v18, v6, 30
	v_mad_u64_u32 v[10:11], s[24:25], v6, s22, 0
	v_lshrrev_b32_e32 v18, 30, v18
	v_mov_b32_e32 v6, v11
	v_mad_u64_u32 v[18:19], s[24:25], v18, s22, v[6:7]
	v_sub_co_u32_e32 v10, vcc, v17, v10
	v_subb_co_u32_e32 v11, vcc, v15, v18, vcc
	s_branch .LBB31_617
.LBB31_620:
	s_or_b64 exec, exec, s[8:9]
	v_add_u32_e32 v6, 0x80000001, v10
	v_min_u32_e32 v6, v6, v10
	v_add_u32_e32 v7, 0x80000001, v6
	v_min_u32_e32 v8, v7, v6
.LBB31_621:
	s_or_b64 exec, exec, s[4:5]
	v_mov_b32_e32 v7, 0
	s_movk_i32 s8, 0x1388
	s_mov_b32 s9, 0xbc8f1391
	s_mov_b32 s10, 0xbc8f
	s_brev_b32 s11, 12
	s_mov_b32 s18, 0xf800000
	v_mov_b32_e32 v6, 0x260
.LBB31_622:                             ; =>This Inner Loop Header: Depth=1
	v_mul_hi_u32 v9, v8, s9
	v_add_f32_e32 v10, 1.0, v7
	s_add_i32 s8, s8, -2
	s_cmp_lg_u32 s8, 0
	v_lshrrev_b32_e32 v9, 15, v9
	v_mul_u32_u24_e32 v11, 0xadc8, v9
	v_sub_u32_e32 v8, v8, v11
	v_mul_lo_u32 v8, v8, s10
	v_mul_u32_u24_e32 v9, 0xd47, v9
	v_xor_b32_e32 v11, 0x7fffffff, v9
	v_sub_u32_e32 v16, 0, v9
	v_cmp_lt_u32_e32 vcc, v8, v9
	v_cndmask_b32_e32 v9, v16, v11, vcc
	v_add_u32_e32 v8, v9, v8
	v_mul_hi_u32 v11, v8, s9
	v_add_u32_e32 v9, -1, v8
	v_cvt_f32_u32_e32 v9, v9
	v_lshrrev_b32_e32 v11, 15, v11
	v_mul_u32_u24_e32 v16, 0xadc8, v11
	v_sub_u32_e32 v8, v8, v16
	v_mul_lo_u32 v8, v8, s10
	v_mul_u32_u24_e32 v11, 0xd47, v11
	v_xor_b32_e32 v16, 0x7fffffff, v11
	v_sub_u32_e32 v17, 0, v11
	v_cmp_lt_u32_e32 vcc, v8, v11
	v_cndmask_b32_e32 v11, v17, v16, vcc
	v_add_u32_e32 v8, v11, v8
	v_mul_hi_u32 v16, v8, s9
	v_add_u32_e32 v11, -1, v8
	v_cvt_f32_u32_e32 v11, v11
	v_fma_f32 v9, v9, s11, 0
	v_lshrrev_b32_e32 v16, 15, v16
	v_mul_u32_u24_e32 v17, 0xadc8, v16
	v_fma_f32 v11, v11, s11, 0
	v_sub_u32_e32 v8, v8, v17
	v_mul_f32_e32 v11, v11, v11
	v_mul_lo_u32 v8, v8, s10
	v_fmac_f32_e32 v11, v9, v9
	v_mul_f32_e32 v9, 0x4f800000, v11
	v_cmp_gt_f32_e32 vcc, s18, v11
	v_mul_u32_u24_e32 v16, 0xd47, v16
	v_cndmask_b32_e32 v9, v11, v9, vcc
	v_xor_b32_e32 v17, 0x7fffffff, v16
	v_sub_u32_e32 v18, 0, v16
	v_sqrt_f32_e32 v11, v9
	v_cmp_lt_u32_e64 s[4:5], v8, v16
	v_cndmask_b32_e64 v16, v18, v17, s[4:5]
	v_add_u32_e32 v8, v16, v8
	v_mul_hi_u32 v17, v8, s9
	v_add_u32_e32 v18, -1, v11
	v_add_u32_e32 v19, 1, v11
	v_fma_f32 v20, -v18, v11, v9
	v_fma_f32 v21, -v19, v11, v9
	v_cmp_ge_f32_e64 s[4:5], 0, v20
	v_cndmask_b32_e64 v11, v11, v18, s[4:5]
	v_cmp_lt_f32_e64 s[4:5], 0, v21
	v_lshrrev_b32_e32 v17, 15, v17
	v_cndmask_b32_e64 v11, v11, v19, s[4:5]
	v_mul_u32_u24_e32 v19, 0xadc8, v17
	v_add_u32_e32 v16, -1, v8
	v_sub_u32_e32 v8, v8, v19
	v_mul_f32_e32 v18, 0x37800000, v11
	v_mul_lo_u32 v8, v8, s10
	v_cndmask_b32_e32 v11, v11, v18, vcc
	v_cmp_class_f32_e32 vcc, v9, v6
	v_cndmask_b32_e32 v9, v11, v9, vcc
	v_mul_u32_u24_e32 v17, 0xd47, v17
	v_cmp_nge_f32_e32 vcc, 1.0, v9
	v_xor_b32_e32 v18, 0x7fffffff, v17
	v_sub_u32_e32 v19, 0, v17
	v_cndmask_b32_e32 v7, v10, v7, vcc
	v_cmp_lt_u32_e32 vcc, v8, v17
	v_cndmask_b32_e32 v10, v19, v18, vcc
	v_add_u32_e32 v8, v10, v8
	v_add_u32_e32 v10, -1, v8
	v_cvt_f32_u32_e32 v10, v10
	v_cvt_f32_u32_e32 v16, v16
	v_add_f32_e32 v9, 1.0, v7
	v_fma_f32 v10, v10, s11, 0
	v_fma_f32 v16, v16, s11, 0
	v_mul_f32_e32 v10, v10, v10
	v_fmac_f32_e32 v10, v16, v16
	v_mul_f32_e32 v11, 0x4f800000, v10
	v_cmp_gt_f32_e32 vcc, s18, v10
	v_cndmask_b32_e32 v10, v10, v11, vcc
	v_sqrt_f32_e32 v11, v10
	v_add_u32_e32 v16, -1, v11
	v_add_u32_e32 v17, 1, v11
	v_fma_f32 v18, -v16, v11, v10
	v_fma_f32 v19, -v17, v11, v10
	v_cmp_ge_f32_e64 s[4:5], 0, v18
	v_cndmask_b32_e64 v11, v11, v16, s[4:5]
	v_cmp_lt_f32_e64 s[4:5], 0, v19
	v_cndmask_b32_e64 v11, v11, v17, s[4:5]
	v_mul_f32_e32 v16, 0x37800000, v11
	v_cndmask_b32_e32 v11, v11, v16, vcc
	v_cmp_class_f32_e32 vcc, v10, v6
	v_cndmask_b32_e32 v10, v11, v10, vcc
	v_cmp_nge_f32_e32 vcc, 1.0, v10
	v_cndmask_b32_e32 v7, v9, v7, vcc
	s_cbranch_scc1 .LBB31_622
; %bb.623:
	v_mul_f32_e32 v6, 4.0, v7
	s_mov_b32 s8, 0x459c4000
	v_div_scale_f32 v7, s[4:5], s8, s8, v6
	v_div_scale_f32 v8, vcc, v6, s8, v6
	v_mov_b32_e32 v17, 0
	v_mov_b32_e32 v18, v17
	;; [unrolled: 1-line block ×3, first 2 shown]
	v_rcp_f32_e32 v9, v7
	v_fma_f32 v10, -v7, v9, 1.0
	v_fmac_f32_e32 v9, v10, v9
	v_mul_f32_e32 v10, v8, v9
	v_fma_f32 v11, -v7, v10, v8
	v_fmac_f32_e32 v10, v11, v9
	v_fma_f32 v7, -v7, v10, v8
	v_div_fmas_f32 v7, v7, v9, v10
	v_div_fixup_f32 v16, v7, s8, v6
.LBB31_624:
	s_or_b64 exec, exec, s[6:7]
	v_add_u32_e32 v6, 0x100, v14
	v_cmp_lt_u32_e64 s[4:5], v6, v12
	s_and_saveexec_b64 s[8:9], s[4:5]
	s_cbranch_execz .LBB31_673
; %bb.625:
	v_add_u32_e32 v6, v15, v6
	s_movk_i32 s6, 0x1388
	v_mul_lo_u32 v6, v6, s6
	v_mov_b32_e32 v8, 1
	v_cmp_ne_u32_e32 vcc, 0, v6
	s_and_saveexec_b64 s[6:7], vcc
	s_cbranch_execz .LBB31_670
; %bb.626:
	v_mov_b32_e32 v7, 0
	v_mov_b32_e32 v10, 1
	;; [unrolled: 1-line block ×3, first 2 shown]
	s_mov_b64 s[18:19], 0xbc8f
	v_mov_b32_e32 v11, 0
	s_mov_b64 s[10:11], 0
	s_brev_b32 s22, -2
	v_mov_b32_e32 v8, v6
	s_branch .LBB31_628
.LBB31_627:                             ;   in Loop: Header=BB31_628 Depth=1
	s_or_b64 exec, exec, s[20:21]
	s_mul_i32 s19, s18, s19
	s_mul_hi_u32 s20, s18, s18
	s_add_i32 s20, s20, s19
	s_add_i32 s20, s20, s19
	s_mul_i32 s21, s18, s18
	s_mul_i32 s19, s20, 3
	s_mul_hi_u32 s23, s21, 3
	s_mul_hi_u32 s18, s20, 3
	s_add_u32 s19, s19, s23
	s_addc_u32 s18, s18, 0
	s_mul_i32 s24, s21, 0x80000001
	s_mul_hi_u32 s23, s21, 0x80000001
	s_add_u32 s19, s24, s19
	s_addc_u32 s19, s23, 0
	s_add_u32 s18, s18, s19
	s_addc_u32 s19, 0, 0
	s_mul_i32 s24, s20, 0x80000001
	s_mul_hi_u32 s23, s20, 0x80000001
	s_add_u32 s18, s24, s18
	s_addc_u32 s19, s23, s19
	s_lshr_b32 s23, s19, 30
	s_lshr_b64 s[18:19], s[18:19], 30
	s_mul_i32 s23, s23, 0x7fffffff
	s_mul_hi_u32 s19, s18, 0x7fffffff
	v_lshrrev_b64 v[20:21], 1, v[8:9]
	s_add_i32 s19, s19, s23
	s_mul_i32 s18, s18, 0x7fffffff
	s_sub_u32 s18, s21, s18
	v_cmp_gt_u64_e32 vcc, 2, v[8:9]
	s_subb_u32 s19, s20, s19
	v_mov_b32_e32 v8, v20
	s_or_b64 s[10:11], vcc, s[10:11]
	v_mov_b32_e32 v9, v21
	s_andn2_b64 exec, exec, s[10:11]
	s_cbranch_execz .LBB31_669
.LBB31_628:                             ; =>This Inner Loop Header: Depth=1
	v_and_b32_e32 v6, 1, v8
	v_cmp_eq_u32_e32 vcc, 1, v6
	s_and_saveexec_b64 s[20:21], vcc
	s_cbranch_execz .LBB31_627
; %bb.629:                              ;   in Loop: Header=BB31_628 Depth=1
	v_mad_u64_u32 v[20:21], s[24:25], s18, v10, 0
	v_mul_lo_u32 v10, s19, v10
	v_mul_lo_u32 v11, s18, v11
	v_mul_hi_u32 v6, v20, 5
	v_add3_u32 v17, v21, v11, v10
	v_mad_u64_u32 v[10:11], s[24:25], v17, 5, v[6:7]
	v_mov_b32_e32 v6, v10
	v_mad_u64_u32 v[21:22], s[24:25], v20, 2, v[6:7]
	v_add_co_u32_e32 v10, vcc, v11, v22
	v_addc_co_u32_e64 v11, s[24:25], 0, 0, vcc
	v_mad_u64_u32 v[10:11], s[24:25], v17, 2, v[10:11]
	v_sub_co_u32_e32 v21, vcc, v20, v10
	v_subb_co_u32_e32 v22, vcc, v17, v11, vcc
	v_lshrrev_b64 v[21:22], 1, v[21:22]
	v_add_co_u32_e32 v6, vcc, v21, v10
	v_addc_co_u32_e32 v21, vcc, v22, v11, vcc
	v_alignbit_b32 v6, v21, v6, 30
	v_mad_u64_u32 v[10:11], s[24:25], v6, s22, 0
	v_lshrrev_b32_e32 v21, 30, v21
	v_mov_b32_e32 v6, v11
	v_mad_u64_u32 v[21:22], s[24:25], v21, s22, v[6:7]
	v_sub_co_u32_e32 v10, vcc, v20, v10
	v_subb_co_u32_e32 v11, vcc, v17, v21, vcc
	s_branch .LBB31_627
.LBB31_630:
	s_or_b64 exec, exec, s[8:9]
	v_add_u32_e32 v6, 0x80000001, v10
	v_min_u32_e32 v6, v6, v10
	v_add_u32_e32 v7, 0x80000001, v6
	v_min_u32_e32 v8, v7, v6
.LBB31_631:
	s_or_b64 exec, exec, s[4:5]
	v_mov_b32_e32 v7, 0
	s_movk_i32 s8, 0x1388
	s_mov_b32 s9, 0xbc8f1391
	s_mov_b32 s10, 0xbc8f
	s_brev_b32 s11, 12
	s_mov_b32 s14, 0xf800000
	v_mov_b32_e32 v6, 0x260
.LBB31_632:                             ; =>This Inner Loop Header: Depth=1
	v_mul_hi_u32 v9, v8, s9
	v_add_f32_e32 v10, 1.0, v7
	s_add_i32 s8, s8, -2
	s_cmp_lg_u32 s8, 0
	v_lshrrev_b32_e32 v9, 15, v9
	v_mul_u32_u24_e32 v11, 0xadc8, v9
	v_sub_u32_e32 v8, v8, v11
	v_mul_lo_u32 v8, v8, s10
	v_mul_u32_u24_e32 v9, 0xd47, v9
	v_xor_b32_e32 v11, 0x7fffffff, v9
	v_sub_u32_e32 v16, 0, v9
	v_cmp_lt_u32_e32 vcc, v8, v9
	v_cndmask_b32_e32 v9, v16, v11, vcc
	v_add_u32_e32 v8, v9, v8
	v_mul_hi_u32 v11, v8, s9
	v_add_u32_e32 v9, -1, v8
	v_cvt_f32_u32_e32 v9, v9
	v_lshrrev_b32_e32 v11, 15, v11
	v_mul_u32_u24_e32 v16, 0xadc8, v11
	v_sub_u32_e32 v8, v8, v16
	v_mul_lo_u32 v8, v8, s10
	v_mul_u32_u24_e32 v11, 0xd47, v11
	v_xor_b32_e32 v16, 0x7fffffff, v11
	v_sub_u32_e32 v17, 0, v11
	v_cmp_lt_u32_e32 vcc, v8, v11
	v_cndmask_b32_e32 v11, v17, v16, vcc
	v_add_u32_e32 v8, v11, v8
	v_mul_hi_u32 v16, v8, s9
	v_add_u32_e32 v11, -1, v8
	v_cvt_f32_u32_e32 v11, v11
	v_fma_f32 v9, v9, s11, 0
	v_lshrrev_b32_e32 v16, 15, v16
	v_mul_u32_u24_e32 v17, 0xadc8, v16
	v_fma_f32 v11, v11, s11, 0
	v_sub_u32_e32 v8, v8, v17
	v_mul_f32_e32 v11, v11, v11
	v_mul_lo_u32 v8, v8, s10
	v_fmac_f32_e32 v11, v9, v9
	v_mul_f32_e32 v9, 0x4f800000, v11
	v_cmp_gt_f32_e32 vcc, s14, v11
	v_mul_u32_u24_e32 v16, 0xd47, v16
	v_cndmask_b32_e32 v9, v11, v9, vcc
	v_xor_b32_e32 v17, 0x7fffffff, v16
	v_sub_u32_e32 v18, 0, v16
	v_sqrt_f32_e32 v11, v9
	v_cmp_lt_u32_e64 s[4:5], v8, v16
	v_cndmask_b32_e64 v16, v18, v17, s[4:5]
	v_add_u32_e32 v8, v16, v8
	v_mul_hi_u32 v17, v8, s9
	v_add_u32_e32 v18, -1, v11
	v_add_u32_e32 v19, 1, v11
	v_fma_f32 v20, -v18, v11, v9
	v_fma_f32 v21, -v19, v11, v9
	v_cmp_ge_f32_e64 s[4:5], 0, v20
	v_cndmask_b32_e64 v11, v11, v18, s[4:5]
	v_cmp_lt_f32_e64 s[4:5], 0, v21
	v_lshrrev_b32_e32 v17, 15, v17
	v_cndmask_b32_e64 v11, v11, v19, s[4:5]
	v_mul_u32_u24_e32 v19, 0xadc8, v17
	v_add_u32_e32 v16, -1, v8
	v_sub_u32_e32 v8, v8, v19
	v_mul_f32_e32 v18, 0x37800000, v11
	v_mul_lo_u32 v8, v8, s10
	v_cndmask_b32_e32 v11, v11, v18, vcc
	v_cmp_class_f32_e32 vcc, v9, v6
	v_cndmask_b32_e32 v9, v11, v9, vcc
	v_mul_u32_u24_e32 v17, 0xd47, v17
	v_cmp_nge_f32_e32 vcc, 1.0, v9
	v_xor_b32_e32 v18, 0x7fffffff, v17
	v_sub_u32_e32 v19, 0, v17
	v_cndmask_b32_e32 v7, v10, v7, vcc
	v_cmp_lt_u32_e32 vcc, v8, v17
	v_cndmask_b32_e32 v10, v19, v18, vcc
	v_add_u32_e32 v8, v10, v8
	v_add_u32_e32 v10, -1, v8
	v_cvt_f32_u32_e32 v10, v10
	v_cvt_f32_u32_e32 v16, v16
	v_add_f32_e32 v9, 1.0, v7
	v_fma_f32 v10, v10, s11, 0
	v_fma_f32 v16, v16, s11, 0
	v_mul_f32_e32 v10, v10, v10
	v_fmac_f32_e32 v10, v16, v16
	v_mul_f32_e32 v11, 0x4f800000, v10
	v_cmp_gt_f32_e32 vcc, s14, v10
	v_cndmask_b32_e32 v10, v10, v11, vcc
	v_sqrt_f32_e32 v11, v10
	v_add_u32_e32 v16, -1, v11
	v_add_u32_e32 v17, 1, v11
	v_fma_f32 v18, -v16, v11, v10
	v_fma_f32 v19, -v17, v11, v10
	v_cmp_ge_f32_e64 s[4:5], 0, v18
	v_cndmask_b32_e64 v11, v11, v16, s[4:5]
	v_cmp_lt_f32_e64 s[4:5], 0, v19
	v_cndmask_b32_e64 v11, v11, v17, s[4:5]
	v_mul_f32_e32 v16, 0x37800000, v11
	v_cndmask_b32_e32 v11, v11, v16, vcc
	v_cmp_class_f32_e32 vcc, v10, v6
	v_cndmask_b32_e32 v10, v11, v10, vcc
	v_cmp_nge_f32_e32 vcc, 1.0, v10
	v_cndmask_b32_e32 v7, v9, v7, vcc
	s_cbranch_scc1 .LBB31_632
; %bb.633:
	v_mul_f32_e32 v6, 4.0, v7
	s_mov_b32 s8, 0x459c4000
	v_div_scale_f32 v7, s[4:5], s8, s8, v6
	v_div_scale_f32 v8, vcc, v6, s8, v6
	v_mov_b32_e32 v17, 0
	v_mov_b32_e32 v18, v17
	;; [unrolled: 1-line block ×7, first 2 shown]
	v_rcp_f32_e32 v9, v7
	v_fma_f32 v10, -v7, v9, 1.0
	v_fmac_f32_e32 v9, v10, v9
	v_mul_f32_e32 v10, v8, v9
	v_fma_f32 v11, -v7, v10, v8
	v_fmac_f32_e32 v10, v11, v9
	v_fma_f32 v7, -v7, v10, v8
	v_div_fmas_f32 v7, v7, v9, v10
	v_div_fixup_f32 v16, v7, s8, v6
.LBB31_634:
	s_or_b64 exec, exec, s[6:7]
	v_add_u32_e32 v6, 0x100, v14
	v_cmp_lt_u32_e64 s[4:5], v6, v12
	s_and_saveexec_b64 s[8:9], s[4:5]
	s_cbranch_execz .LBB31_683
; %bb.635:
	v_add_u32_e32 v6, v15, v6
	s_movk_i32 s6, 0x1388
	v_mul_lo_u32 v6, v6, s6
	v_mov_b32_e32 v8, 1
	v_cmp_ne_u32_e32 vcc, 0, v6
	s_and_saveexec_b64 s[6:7], vcc
	s_cbranch_execz .LBB31_680
; %bb.636:
	v_mov_b32_e32 v7, 0
	v_mov_b32_e32 v10, 1
	;; [unrolled: 1-line block ×3, first 2 shown]
	s_mov_b64 s[14:15], 0xbc8f
	v_mov_b32_e32 v11, 0
	s_mov_b64 s[10:11], 0
	s_brev_b32 s18, -2
	v_mov_b32_e32 v8, v6
	s_branch .LBB31_638
.LBB31_637:                             ;   in Loop: Header=BB31_638 Depth=1
	s_or_b64 exec, exec, s[16:17]
	s_mul_i32 s15, s14, s15
	s_mul_hi_u32 s16, s14, s14
	s_add_i32 s16, s16, s15
	s_add_i32 s16, s16, s15
	s_mul_i32 s17, s14, s14
	s_mul_i32 s15, s16, 3
	s_mul_hi_u32 s19, s17, 3
	s_mul_hi_u32 s14, s16, 3
	s_add_u32 s15, s15, s19
	s_addc_u32 s14, s14, 0
	s_mul_i32 s20, s17, 0x80000001
	s_mul_hi_u32 s19, s17, 0x80000001
	s_add_u32 s15, s20, s15
	s_addc_u32 s15, s19, 0
	s_add_u32 s14, s14, s15
	s_addc_u32 s15, 0, 0
	s_mul_i32 s20, s16, 0x80000001
	s_mul_hi_u32 s19, s16, 0x80000001
	s_add_u32 s14, s20, s14
	s_addc_u32 s15, s19, s15
	s_lshr_b32 s19, s15, 30
	s_lshr_b64 s[14:15], s[14:15], 30
	s_mul_i32 s19, s19, 0x7fffffff
	s_mul_hi_u32 s15, s14, 0x7fffffff
	v_lshrrev_b64 v[24:25], 1, v[8:9]
	s_add_i32 s15, s15, s19
	s_mul_i32 s14, s14, 0x7fffffff
	s_sub_u32 s14, s17, s14
	v_cmp_gt_u64_e32 vcc, 2, v[8:9]
	s_subb_u32 s15, s16, s15
	v_mov_b32_e32 v8, v24
	s_or_b64 s[10:11], vcc, s[10:11]
	v_mov_b32_e32 v9, v25
	s_andn2_b64 exec, exec, s[10:11]
	s_cbranch_execz .LBB31_679
.LBB31_638:                             ; =>This Inner Loop Header: Depth=1
	v_and_b32_e32 v6, 1, v8
	v_cmp_eq_u32_e32 vcc, 1, v6
	s_and_saveexec_b64 s[16:17], vcc
	s_cbranch_execz .LBB31_637
; %bb.639:                              ;   in Loop: Header=BB31_638 Depth=1
	v_mad_u64_u32 v[24:25], s[20:21], s14, v10, 0
	v_mul_lo_u32 v10, s15, v10
	v_mul_lo_u32 v11, s14, v11
	v_mul_hi_u32 v6, v24, 5
	v_add3_u32 v17, v25, v11, v10
	v_mad_u64_u32 v[10:11], s[20:21], v17, 5, v[6:7]
	v_mov_b32_e32 v6, v10
	v_mad_u64_u32 v[25:26], s[20:21], v24, 2, v[6:7]
	v_add_co_u32_e32 v10, vcc, v11, v26
	v_addc_co_u32_e64 v11, s[20:21], 0, 0, vcc
	v_mad_u64_u32 v[10:11], s[20:21], v17, 2, v[10:11]
	v_sub_co_u32_e32 v25, vcc, v24, v10
	v_subb_co_u32_e32 v26, vcc, v17, v11, vcc
	v_lshrrev_b64 v[25:26], 1, v[25:26]
	v_add_co_u32_e32 v6, vcc, v25, v10
	v_addc_co_u32_e32 v25, vcc, v26, v11, vcc
	v_alignbit_b32 v6, v25, v6, 30
	v_mad_u64_u32 v[10:11], s[20:21], v6, s18, 0
	v_lshrrev_b32_e32 v25, 30, v25
	v_mov_b32_e32 v6, v11
	v_mad_u64_u32 v[25:26], s[20:21], v25, s18, v[6:7]
	v_sub_co_u32_e32 v10, vcc, v24, v10
	v_subb_co_u32_e32 v11, vcc, v17, v25, vcc
	s_branch .LBB31_637
.LBB31_640:
	s_or_b64 exec, exec, s[8:9]
	v_add_u32_e32 v6, 0x80000001, v10
	v_min_u32_e32 v6, v6, v10
	v_add_u32_e32 v7, 0x80000001, v6
	v_min_u32_e32 v8, v7, v6
.LBB31_641:
	s_or_b64 exec, exec, s[4:5]
	v_mov_b32_e32 v7, 0
	s_movk_i32 s8, 0x1388
	s_mov_b32 s9, 0xbc8f1391
	s_mov_b32 s10, 0xbc8f
	s_brev_b32 s11, 12
	s_mov_b32 s14, 0xf800000
	v_mov_b32_e32 v6, 0x260
.LBB31_642:                             ; =>This Inner Loop Header: Depth=1
	v_mul_hi_u32 v9, v8, s9
	v_add_f32_e32 v10, 1.0, v7
	s_add_i32 s8, s8, -2
	s_cmp_lg_u32 s8, 0
	v_lshrrev_b32_e32 v9, 15, v9
	v_mul_u32_u24_e32 v11, 0xadc8, v9
	v_sub_u32_e32 v8, v8, v11
	v_mul_lo_u32 v8, v8, s10
	v_mul_u32_u24_e32 v9, 0xd47, v9
	v_xor_b32_e32 v11, 0x7fffffff, v9
	v_sub_u32_e32 v16, 0, v9
	v_cmp_lt_u32_e32 vcc, v8, v9
	v_cndmask_b32_e32 v9, v16, v11, vcc
	v_add_u32_e32 v8, v9, v8
	v_mul_hi_u32 v11, v8, s9
	v_add_u32_e32 v9, -1, v8
	v_cvt_f32_u32_e32 v9, v9
	v_lshrrev_b32_e32 v11, 15, v11
	v_mul_u32_u24_e32 v16, 0xadc8, v11
	v_sub_u32_e32 v8, v8, v16
	v_mul_lo_u32 v8, v8, s10
	v_mul_u32_u24_e32 v11, 0xd47, v11
	v_xor_b32_e32 v16, 0x7fffffff, v11
	v_sub_u32_e32 v17, 0, v11
	v_cmp_lt_u32_e32 vcc, v8, v11
	v_cndmask_b32_e32 v11, v17, v16, vcc
	v_add_u32_e32 v8, v11, v8
	v_mul_hi_u32 v16, v8, s9
	v_add_u32_e32 v11, -1, v8
	v_cvt_f32_u32_e32 v11, v11
	v_fma_f32 v9, v9, s11, 0
	v_lshrrev_b32_e32 v16, 15, v16
	v_mul_u32_u24_e32 v17, 0xadc8, v16
	v_fma_f32 v11, v11, s11, 0
	v_sub_u32_e32 v8, v8, v17
	v_mul_f32_e32 v11, v11, v11
	v_mul_lo_u32 v8, v8, s10
	v_fmac_f32_e32 v11, v9, v9
	v_mul_f32_e32 v9, 0x4f800000, v11
	v_cmp_gt_f32_e32 vcc, s14, v11
	v_mul_u32_u24_e32 v16, 0xd47, v16
	v_cndmask_b32_e32 v9, v11, v9, vcc
	v_xor_b32_e32 v17, 0x7fffffff, v16
	v_sub_u32_e32 v18, 0, v16
	v_sqrt_f32_e32 v11, v9
	v_cmp_lt_u32_e64 s[4:5], v8, v16
	v_cndmask_b32_e64 v16, v18, v17, s[4:5]
	v_add_u32_e32 v8, v16, v8
	v_mul_hi_u32 v17, v8, s9
	v_add_u32_e32 v18, -1, v11
	v_add_u32_e32 v19, 1, v11
	v_fma_f32 v20, -v18, v11, v9
	v_fma_f32 v21, -v19, v11, v9
	v_cmp_ge_f32_e64 s[4:5], 0, v20
	v_cndmask_b32_e64 v11, v11, v18, s[4:5]
	v_cmp_lt_f32_e64 s[4:5], 0, v21
	v_lshrrev_b32_e32 v17, 15, v17
	v_cndmask_b32_e64 v11, v11, v19, s[4:5]
	v_mul_u32_u24_e32 v19, 0xadc8, v17
	v_add_u32_e32 v16, -1, v8
	v_sub_u32_e32 v8, v8, v19
	v_mul_f32_e32 v18, 0x37800000, v11
	v_mul_lo_u32 v8, v8, s10
	v_cndmask_b32_e32 v11, v11, v18, vcc
	v_cmp_class_f32_e32 vcc, v9, v6
	v_cndmask_b32_e32 v9, v11, v9, vcc
	v_mul_u32_u24_e32 v17, 0xd47, v17
	v_cmp_nge_f32_e32 vcc, 1.0, v9
	v_xor_b32_e32 v18, 0x7fffffff, v17
	v_sub_u32_e32 v19, 0, v17
	v_cndmask_b32_e32 v7, v10, v7, vcc
	v_cmp_lt_u32_e32 vcc, v8, v17
	v_cndmask_b32_e32 v10, v19, v18, vcc
	v_add_u32_e32 v8, v10, v8
	v_add_u32_e32 v10, -1, v8
	v_cvt_f32_u32_e32 v10, v10
	v_cvt_f32_u32_e32 v16, v16
	v_add_f32_e32 v9, 1.0, v7
	v_fma_f32 v10, v10, s11, 0
	v_fma_f32 v16, v16, s11, 0
	v_mul_f32_e32 v10, v10, v10
	v_fmac_f32_e32 v10, v16, v16
	v_mul_f32_e32 v11, 0x4f800000, v10
	v_cmp_gt_f32_e32 vcc, s14, v10
	v_cndmask_b32_e32 v10, v10, v11, vcc
	v_sqrt_f32_e32 v11, v10
	v_add_u32_e32 v16, -1, v11
	v_add_u32_e32 v17, 1, v11
	v_fma_f32 v18, -v16, v11, v10
	v_fma_f32 v19, -v17, v11, v10
	v_cmp_ge_f32_e64 s[4:5], 0, v18
	v_cndmask_b32_e64 v11, v11, v16, s[4:5]
	v_cmp_lt_f32_e64 s[4:5], 0, v19
	v_cndmask_b32_e64 v11, v11, v17, s[4:5]
	v_mul_f32_e32 v16, 0x37800000, v11
	v_cndmask_b32_e32 v11, v11, v16, vcc
	v_cmp_class_f32_e32 vcc, v10, v6
	v_cndmask_b32_e32 v10, v11, v10, vcc
	v_cmp_nge_f32_e32 vcc, 1.0, v10
	v_cndmask_b32_e32 v7, v9, v7, vcc
	s_cbranch_scc1 .LBB31_642
; %bb.643:
	v_mul_f32_e32 v6, 4.0, v7
	s_mov_b32 s8, 0x459c4000
	v_div_scale_f32 v7, s[4:5], s8, s8, v6
	v_div_scale_f32 v8, vcc, v6, s8, v6
	v_mov_b32_e32 v17, 0
	v_mov_b32_e32 v18, v17
	;; [unrolled: 1-line block ×12, first 2 shown]
	v_rcp_f32_e32 v9, v7
	v_mov_b32_e32 v29, v17
	v_mov_b32_e32 v30, v17
	;; [unrolled: 1-line block ×3, first 2 shown]
	v_fma_f32 v10, -v7, v9, 1.0
	v_fmac_f32_e32 v9, v10, v9
	v_mul_f32_e32 v10, v8, v9
	v_fma_f32 v11, -v7, v10, v8
	v_fmac_f32_e32 v10, v11, v9
	v_fma_f32 v7, -v7, v10, v8
	v_div_fmas_f32 v7, v7, v9, v10
	v_div_fixup_f32 v16, v7, s8, v6
.LBB31_644:
	s_or_b64 exec, exec, s[6:7]
	v_add_u32_e32 v6, 0x100, v14
	v_cmp_lt_u32_e64 s[4:5], v6, v12
	s_and_saveexec_b64 s[8:9], s[4:5]
	s_cbranch_execz .LBB31_693
; %bb.645:
	v_add_u32_e32 v6, v15, v6
	s_movk_i32 s6, 0x1388
	v_mul_lo_u32 v6, v6, s6
	v_mov_b32_e32 v8, 1
	v_cmp_ne_u32_e32 vcc, 0, v6
	s_and_saveexec_b64 s[6:7], vcc
	s_cbranch_execz .LBB31_690
; %bb.646:
	v_mov_b32_e32 v7, 0
	v_mov_b32_e32 v10, 1
	;; [unrolled: 1-line block ×3, first 2 shown]
	s_mov_b64 s[14:15], 0xbc8f
	v_mov_b32_e32 v11, 0
	s_mov_b64 s[10:11], 0
	s_brev_b32 s18, -2
	v_mov_b32_e32 v8, v6
	s_branch .LBB31_648
.LBB31_647:                             ;   in Loop: Header=BB31_648 Depth=1
	s_or_b64 exec, exec, s[16:17]
	s_mul_i32 s15, s14, s15
	s_mul_hi_u32 s16, s14, s14
	s_add_i32 s16, s16, s15
	s_add_i32 s16, s16, s15
	s_mul_i32 s17, s14, s14
	s_mul_i32 s15, s16, 3
	s_mul_hi_u32 s19, s17, 3
	s_mul_hi_u32 s14, s16, 3
	s_add_u32 s15, s15, s19
	s_addc_u32 s14, s14, 0
	s_mul_i32 s20, s17, 0x80000001
	s_mul_hi_u32 s19, s17, 0x80000001
	s_add_u32 s15, s20, s15
	s_addc_u32 s15, s19, 0
	s_add_u32 s14, s14, s15
	s_addc_u32 s15, 0, 0
	s_mul_i32 s20, s16, 0x80000001
	s_mul_hi_u32 s19, s16, 0x80000001
	s_add_u32 s14, s20, s14
	s_addc_u32 s15, s19, s15
	s_lshr_b32 s19, s15, 30
	s_lshr_b64 s[14:15], s[14:15], 30
	s_mul_i32 s19, s19, 0x7fffffff
	s_mul_hi_u32 s15, s14, 0x7fffffff
	v_lshrrev_b64 v[33:34], 1, v[8:9]
	s_add_i32 s15, s15, s19
	s_mul_i32 s14, s14, 0x7fffffff
	s_sub_u32 s14, s17, s14
	v_cmp_gt_u64_e32 vcc, 2, v[8:9]
	s_subb_u32 s15, s16, s15
	v_mov_b32_e32 v8, v33
	s_or_b64 s[10:11], vcc, s[10:11]
	v_mov_b32_e32 v9, v34
	s_andn2_b64 exec, exec, s[10:11]
	s_cbranch_execz .LBB31_689
.LBB31_648:                             ; =>This Inner Loop Header: Depth=1
	v_and_b32_e32 v6, 1, v8
	v_cmp_eq_u32_e32 vcc, 1, v6
	s_and_saveexec_b64 s[16:17], vcc
	s_cbranch_execz .LBB31_647
; %bb.649:                              ;   in Loop: Header=BB31_648 Depth=1
	v_mad_u64_u32 v[33:34], s[20:21], s14, v10, 0
	v_mul_lo_u32 v10, s15, v10
	v_mul_lo_u32 v11, s14, v11
	v_mul_hi_u32 v6, v33, 5
	v_add3_u32 v17, v34, v11, v10
	v_mad_u64_u32 v[10:11], s[20:21], v17, 5, v[6:7]
	v_mov_b32_e32 v6, v10
	v_mad_u64_u32 v[34:35], s[20:21], v33, 2, v[6:7]
	v_add_co_u32_e32 v10, vcc, v11, v35
	v_addc_co_u32_e64 v11, s[20:21], 0, 0, vcc
	v_mad_u64_u32 v[10:11], s[20:21], v17, 2, v[10:11]
	v_sub_co_u32_e32 v34, vcc, v33, v10
	v_subb_co_u32_e32 v35, vcc, v17, v11, vcc
	v_lshrrev_b64 v[34:35], 1, v[34:35]
	v_add_co_u32_e32 v6, vcc, v34, v10
	v_addc_co_u32_e32 v34, vcc, v35, v11, vcc
	v_alignbit_b32 v6, v34, v6, 30
	v_mad_u64_u32 v[10:11], s[20:21], v6, s18, 0
	v_lshrrev_b32_e32 v34, 30, v34
	v_mov_b32_e32 v6, v11
	v_mad_u64_u32 v[34:35], s[20:21], v34, s18, v[6:7]
	v_sub_co_u32_e32 v10, vcc, v33, v10
	v_subb_co_u32_e32 v11, vcc, v17, v34, vcc
	s_branch .LBB31_647
.LBB31_650:
	s_or_b64 exec, exec, s[8:9]
	v_add_u32_e32 v4, 0x80000001, v8
	v_min_u32_e32 v4, v4, v8
	v_add_u32_e32 v5, 0x80000001, v4
	v_min_u32_e32 v6, v5, v4
.LBB31_651:
	s_or_b64 exec, exec, s[4:5]
	v_mov_b32_e32 v5, 0
	s_movk_i32 s8, 0x1388
	s_mov_b32 s9, 0xbc8f1391
	s_mov_b32 s10, 0xbc8f
	s_brev_b32 s11, 12
	s_mov_b32 s14, 0xf800000
	v_mov_b32_e32 v4, 0x260
.LBB31_652:                             ; =>This Inner Loop Header: Depth=1
	v_mul_hi_u32 v7, v6, s9
	v_add_f32_e32 v8, 1.0, v5
	s_add_i32 s8, s8, -2
	s_cmp_lg_u32 s8, 0
	v_lshrrev_b32_e32 v7, 15, v7
	v_mul_u32_u24_e32 v9, 0xadc8, v7
	v_sub_u32_e32 v6, v6, v9
	v_mul_lo_u32 v6, v6, s10
	v_mul_u32_u24_e32 v7, 0xd47, v7
	v_xor_b32_e32 v9, 0x7fffffff, v7
	v_sub_u32_e32 v14, 0, v7
	v_cmp_lt_u32_e32 vcc, v6, v7
	v_cndmask_b32_e32 v7, v14, v9, vcc
	v_add_u32_e32 v6, v7, v6
	v_mul_hi_u32 v9, v6, s9
	v_add_u32_e32 v7, -1, v6
	v_cvt_f32_u32_e32 v7, v7
	v_lshrrev_b32_e32 v9, 15, v9
	v_mul_u32_u24_e32 v14, 0xadc8, v9
	v_sub_u32_e32 v6, v6, v14
	v_mul_lo_u32 v6, v6, s10
	v_mul_u32_u24_e32 v9, 0xd47, v9
	v_xor_b32_e32 v14, 0x7fffffff, v9
	v_sub_u32_e32 v15, 0, v9
	v_cmp_lt_u32_e32 vcc, v6, v9
	v_cndmask_b32_e32 v9, v15, v14, vcc
	v_add_u32_e32 v6, v9, v6
	v_mul_hi_u32 v14, v6, s9
	v_add_u32_e32 v9, -1, v6
	v_cvt_f32_u32_e32 v9, v9
	v_fma_f32 v7, v7, s11, 0
	v_lshrrev_b32_e32 v14, 15, v14
	v_mul_u32_u24_e32 v15, 0xadc8, v14
	v_fma_f32 v9, v9, s11, 0
	v_sub_u32_e32 v6, v6, v15
	v_mul_f32_e32 v9, v9, v9
	v_mul_lo_u32 v6, v6, s10
	v_fmac_f32_e32 v9, v7, v7
	v_mul_f32_e32 v7, 0x4f800000, v9
	v_cmp_gt_f32_e32 vcc, s14, v9
	v_mul_u32_u24_e32 v14, 0xd47, v14
	v_cndmask_b32_e32 v7, v9, v7, vcc
	v_xor_b32_e32 v15, 0x7fffffff, v14
	v_sub_u32_e32 v16, 0, v14
	v_sqrt_f32_e32 v9, v7
	v_cmp_lt_u32_e64 s[4:5], v6, v14
	v_cndmask_b32_e64 v14, v16, v15, s[4:5]
	v_add_u32_e32 v6, v14, v6
	v_mul_hi_u32 v15, v6, s9
	v_add_u32_e32 v16, -1, v9
	v_add_u32_e32 v17, 1, v9
	v_fma_f32 v18, -v16, v9, v7
	v_fma_f32 v19, -v17, v9, v7
	v_cmp_ge_f32_e64 s[4:5], 0, v18
	v_cndmask_b32_e64 v9, v9, v16, s[4:5]
	v_cmp_lt_f32_e64 s[4:5], 0, v19
	v_lshrrev_b32_e32 v15, 15, v15
	v_cndmask_b32_e64 v9, v9, v17, s[4:5]
	v_mul_u32_u24_e32 v17, 0xadc8, v15
	v_add_u32_e32 v14, -1, v6
	v_sub_u32_e32 v6, v6, v17
	v_mul_f32_e32 v16, 0x37800000, v9
	v_mul_lo_u32 v6, v6, s10
	v_cndmask_b32_e32 v9, v9, v16, vcc
	v_cmp_class_f32_e32 vcc, v7, v4
	v_cndmask_b32_e32 v7, v9, v7, vcc
	v_mul_u32_u24_e32 v15, 0xd47, v15
	v_cmp_nge_f32_e32 vcc, 1.0, v7
	v_xor_b32_e32 v16, 0x7fffffff, v15
	v_sub_u32_e32 v17, 0, v15
	v_cndmask_b32_e32 v5, v8, v5, vcc
	v_cmp_lt_u32_e32 vcc, v6, v15
	v_cndmask_b32_e32 v8, v17, v16, vcc
	v_add_u32_e32 v6, v8, v6
	v_add_u32_e32 v8, -1, v6
	v_cvt_f32_u32_e32 v8, v8
	v_cvt_f32_u32_e32 v14, v14
	v_add_f32_e32 v7, 1.0, v5
	v_fma_f32 v8, v8, s11, 0
	v_fma_f32 v14, v14, s11, 0
	v_mul_f32_e32 v8, v8, v8
	v_fmac_f32_e32 v8, v14, v14
	v_mul_f32_e32 v9, 0x4f800000, v8
	v_cmp_gt_f32_e32 vcc, s14, v8
	v_cndmask_b32_e32 v8, v8, v9, vcc
	v_sqrt_f32_e32 v9, v8
	v_add_u32_e32 v14, -1, v9
	v_add_u32_e32 v15, 1, v9
	v_fma_f32 v16, -v14, v9, v8
	v_fma_f32 v17, -v15, v9, v8
	v_cmp_ge_f32_e64 s[4:5], 0, v16
	v_cndmask_b32_e64 v9, v9, v14, s[4:5]
	v_cmp_lt_f32_e64 s[4:5], 0, v17
	v_cndmask_b32_e64 v9, v9, v15, s[4:5]
	v_mul_f32_e32 v14, 0x37800000, v9
	v_cndmask_b32_e32 v9, v9, v14, vcc
	v_cmp_class_f32_e32 vcc, v8, v4
	v_cndmask_b32_e32 v8, v9, v8, vcc
	v_cmp_nge_f32_e32 vcc, 1.0, v8
	v_cndmask_b32_e32 v5, v7, v5, vcc
	s_cbranch_scc1 .LBB31_652
; %bb.653:
	v_mul_f32_e32 v4, 4.0, v5
	s_mov_b32 s8, 0x459c4000
	v_div_scale_f32 v5, s[4:5], s8, s8, v4
	v_div_scale_f32 v6, vcc, v4, s8, v4
	v_rcp_f32_e32 v7, v5
	v_fma_f32 v8, -v5, v7, 1.0
	v_fmac_f32_e32 v7, v8, v7
	v_mul_f32_e32 v8, v6, v7
	v_fma_f32 v9, -v5, v8, v6
	v_fmac_f32_e32 v8, v9, v7
	v_fma_f32 v5, -v5, v8, v6
	v_div_fmas_f32 v5, v5, v7, v8
	v_div_fixup_f32 v14, v5, s8, v4
.LBB31_654:
	s_or_b64 exec, exec, s[6:7]
	v_add_u32_e32 v4, 0x100, v12
	v_cmp_lt_u32_e64 s[4:5], v4, v10
                                        ; implicit-def: $vgpr15
	s_and_saveexec_b64 s[8:9], s[4:5]
	s_cbranch_execz .LBB31_703
; %bb.655:
	v_add_u32_e32 v4, v13, v4
	s_movk_i32 s6, 0x1388
	v_mul_lo_u32 v4, v4, s6
	v_mov_b32_e32 v6, 1
	v_cmp_ne_u32_e32 vcc, 0, v4
	s_and_saveexec_b64 s[6:7], vcc
	s_cbranch_execz .LBB31_700
; %bb.656:
	v_mov_b32_e32 v5, 0
	v_mov_b32_e32 v8, 1
	;; [unrolled: 1-line block ×3, first 2 shown]
	s_mov_b64 s[14:15], 0xbc8f
	v_mov_b32_e32 v9, 0
	s_mov_b64 s[10:11], 0
	s_brev_b32 s18, -2
	v_mov_b32_e32 v6, v4
	s_branch .LBB31_658
.LBB31_657:                             ;   in Loop: Header=BB31_658 Depth=1
	s_or_b64 exec, exec, s[16:17]
	s_mul_i32 s15, s14, s15
	s_mul_hi_u32 s16, s14, s14
	s_add_i32 s16, s16, s15
	s_add_i32 s16, s16, s15
	s_mul_i32 s17, s14, s14
	s_mul_i32 s15, s16, 3
	s_mul_hi_u32 s19, s17, 3
	s_mul_hi_u32 s14, s16, 3
	s_add_u32 s15, s15, s19
	s_addc_u32 s14, s14, 0
	s_mul_i32 s20, s17, 0x80000001
	s_mul_hi_u32 s19, s17, 0x80000001
	s_add_u32 s15, s20, s15
	s_addc_u32 s15, s19, 0
	s_add_u32 s14, s14, s15
	s_addc_u32 s15, 0, 0
	s_mul_i32 s20, s16, 0x80000001
	s_mul_hi_u32 s19, s16, 0x80000001
	s_add_u32 s14, s20, s14
	s_addc_u32 s15, s19, s15
	s_lshr_b32 s19, s15, 30
	s_lshr_b64 s[14:15], s[14:15], 30
	s_mul_i32 s19, s19, 0x7fffffff
	s_mul_hi_u32 s15, s14, 0x7fffffff
	v_lshrrev_b64 v[15:16], 1, v[6:7]
	s_add_i32 s15, s15, s19
	s_mul_i32 s14, s14, 0x7fffffff
	s_sub_u32 s14, s17, s14
	v_cmp_gt_u64_e32 vcc, 2, v[6:7]
	s_subb_u32 s15, s16, s15
	v_mov_b32_e32 v6, v15
	s_or_b64 s[10:11], vcc, s[10:11]
	v_mov_b32_e32 v7, v16
	s_andn2_b64 exec, exec, s[10:11]
	s_cbranch_execz .LBB31_699
.LBB31_658:                             ; =>This Inner Loop Header: Depth=1
	v_and_b32_e32 v4, 1, v6
	v_cmp_eq_u32_e32 vcc, 1, v4
	s_and_saveexec_b64 s[16:17], vcc
	s_cbranch_execz .LBB31_657
; %bb.659:                              ;   in Loop: Header=BB31_658 Depth=1
	v_mad_u64_u32 v[15:16], s[20:21], s14, v8, 0
	v_mul_lo_u32 v8, s15, v8
	v_mul_lo_u32 v9, s14, v9
	v_mul_hi_u32 v4, v15, 5
	v_add3_u32 v18, v16, v9, v8
	v_mad_u64_u32 v[8:9], s[20:21], v18, 5, v[4:5]
	v_mov_b32_e32 v4, v8
	v_mad_u64_u32 v[16:17], s[20:21], v15, 2, v[4:5]
	v_add_co_u32_e32 v8, vcc, v9, v17
	v_addc_co_u32_e64 v9, s[20:21], 0, 0, vcc
	v_mad_u64_u32 v[8:9], s[20:21], v18, 2, v[8:9]
	v_sub_co_u32_e32 v16, vcc, v15, v8
	v_subb_co_u32_e32 v17, vcc, v18, v9, vcc
	v_lshrrev_b64 v[16:17], 1, v[16:17]
	v_add_co_u32_e32 v4, vcc, v16, v8
	v_addc_co_u32_e32 v16, vcc, v17, v9, vcc
	v_alignbit_b32 v4, v16, v4, 30
	v_mad_u64_u32 v[8:9], s[20:21], v4, s18, 0
	v_lshrrev_b32_e32 v16, 30, v16
	v_mov_b32_e32 v4, v9
	v_mad_u64_u32 v[16:17], s[20:21], v16, s18, v[4:5]
	v_sub_co_u32_e32 v8, vcc, v15, v8
	v_subb_co_u32_e32 v9, vcc, v18, v16, vcc
	s_branch .LBB31_657
.LBB31_660:
	s_or_b64 exec, exec, s[16:17]
	v_add_u32_e32 v6, 0x80000001, v10
	v_min_u32_e32 v6, v6, v10
	v_add_u32_e32 v7, 0x80000001, v6
	v_min_u32_e32 v8, v7, v6
.LBB31_661:
	s_or_b64 exec, exec, s[6:7]
	v_mov_b32_e32 v7, 0
	s_movk_i32 s16, 0x1388
	s_mov_b32 s17, 0xbc8f1391
	s_mov_b32 s18, 0xbc8f
	s_brev_b32 s19, 12
	s_mov_b32 s20, 0xf800000
	v_mov_b32_e32 v6, 0x260
.LBB31_662:                             ; =>This Inner Loop Header: Depth=1
	v_mul_hi_u32 v9, v8, s17
	v_add_f32_e32 v10, 1.0, v7
	s_add_i32 s16, s16, -2
	s_cmp_lg_u32 s16, 0
	v_lshrrev_b32_e32 v9, 15, v9
	v_mul_u32_u24_e32 v11, 0xadc8, v9
	v_sub_u32_e32 v8, v8, v11
	v_mul_lo_u32 v8, v8, s18
	v_mul_u32_u24_e32 v9, 0xd47, v9
	v_xor_b32_e32 v11, 0x7fffffff, v9
	v_sub_u32_e32 v15, 0, v9
	v_cmp_lt_u32_e32 vcc, v8, v9
	v_cndmask_b32_e32 v9, v15, v11, vcc
	v_add_u32_e32 v8, v9, v8
	v_mul_hi_u32 v11, v8, s17
	v_add_u32_e32 v9, -1, v8
	v_cvt_f32_u32_e32 v9, v9
	v_lshrrev_b32_e32 v11, 15, v11
	v_mul_u32_u24_e32 v15, 0xadc8, v11
	v_sub_u32_e32 v8, v8, v15
	v_mul_lo_u32 v8, v8, s18
	v_mul_u32_u24_e32 v11, 0xd47, v11
	v_xor_b32_e32 v15, 0x7fffffff, v11
	v_sub_u32_e32 v17, 0, v11
	v_cmp_lt_u32_e32 vcc, v8, v11
	v_cndmask_b32_e32 v11, v17, v15, vcc
	v_add_u32_e32 v8, v11, v8
	v_mul_hi_u32 v15, v8, s17
	v_add_u32_e32 v11, -1, v8
	v_cvt_f32_u32_e32 v11, v11
	v_fma_f32 v9, v9, s19, 0
	v_lshrrev_b32_e32 v15, 15, v15
	v_mul_u32_u24_e32 v17, 0xadc8, v15
	v_fma_f32 v11, v11, s19, 0
	v_sub_u32_e32 v8, v8, v17
	v_mul_f32_e32 v11, v11, v11
	v_mul_lo_u32 v8, v8, s18
	v_fmac_f32_e32 v11, v9, v9
	v_mul_f32_e32 v9, 0x4f800000, v11
	v_cmp_gt_f32_e32 vcc, s20, v11
	v_mul_u32_u24_e32 v15, 0xd47, v15
	v_cndmask_b32_e32 v9, v11, v9, vcc
	v_xor_b32_e32 v17, 0x7fffffff, v15
	v_sub_u32_e32 v18, 0, v15
	v_sqrt_f32_e32 v11, v9
	v_cmp_lt_u32_e64 s[6:7], v8, v15
	v_cndmask_b32_e64 v15, v18, v17, s[6:7]
	v_add_u32_e32 v8, v15, v8
	v_mul_hi_u32 v17, v8, s17
	v_add_u32_e32 v18, -1, v11
	v_add_u32_e32 v19, 1, v11
	v_fma_f32 v20, -v18, v11, v9
	v_fma_f32 v21, -v19, v11, v9
	v_cmp_ge_f32_e64 s[6:7], 0, v20
	v_cndmask_b32_e64 v11, v11, v18, s[6:7]
	v_cmp_lt_f32_e64 s[6:7], 0, v21
	v_lshrrev_b32_e32 v17, 15, v17
	v_cndmask_b32_e64 v11, v11, v19, s[6:7]
	v_mul_u32_u24_e32 v19, 0xadc8, v17
	v_add_u32_e32 v15, -1, v8
	v_sub_u32_e32 v8, v8, v19
	v_mul_f32_e32 v18, 0x37800000, v11
	v_mul_lo_u32 v8, v8, s18
	v_cndmask_b32_e32 v11, v11, v18, vcc
	v_cmp_class_f32_e32 vcc, v9, v6
	v_cndmask_b32_e32 v9, v11, v9, vcc
	v_mul_u32_u24_e32 v17, 0xd47, v17
	v_cmp_nge_f32_e32 vcc, 1.0, v9
	v_xor_b32_e32 v18, 0x7fffffff, v17
	v_sub_u32_e32 v19, 0, v17
	v_cndmask_b32_e32 v7, v10, v7, vcc
	v_cmp_lt_u32_e32 vcc, v8, v17
	v_cndmask_b32_e32 v10, v19, v18, vcc
	v_add_u32_e32 v8, v10, v8
	v_add_u32_e32 v10, -1, v8
	v_cvt_f32_u32_e32 v10, v10
	v_cvt_f32_u32_e32 v15, v15
	v_add_f32_e32 v9, 1.0, v7
	v_fma_f32 v10, v10, s19, 0
	v_fma_f32 v15, v15, s19, 0
	v_mul_f32_e32 v10, v10, v10
	v_fmac_f32_e32 v10, v15, v15
	v_mul_f32_e32 v11, 0x4f800000, v10
	v_cmp_gt_f32_e32 vcc, s20, v10
	v_cndmask_b32_e32 v10, v10, v11, vcc
	v_sqrt_f32_e32 v11, v10
	v_add_u32_e32 v15, -1, v11
	v_add_u32_e32 v17, 1, v11
	v_fma_f32 v18, -v15, v11, v10
	v_fma_f32 v19, -v17, v11, v10
	v_cmp_ge_f32_e64 s[6:7], 0, v18
	v_cndmask_b32_e64 v11, v11, v15, s[6:7]
	v_cmp_lt_f32_e64 s[6:7], 0, v19
	v_cndmask_b32_e64 v11, v11, v17, s[6:7]
	v_mul_f32_e32 v15, 0x37800000, v11
	v_cndmask_b32_e32 v11, v11, v15, vcc
	v_cmp_class_f32_e32 vcc, v10, v6
	v_cndmask_b32_e32 v10, v11, v10, vcc
	v_cmp_nge_f32_e32 vcc, 1.0, v10
	v_cndmask_b32_e32 v7, v9, v7, vcc
	s_cbranch_scc1 .LBB31_662
; %bb.663:
	v_mul_f32_e32 v6, 4.0, v7
	s_mov_b32 s16, 0x459c4000
	v_div_scale_f32 v7, s[6:7], s16, s16, v6
	v_div_scale_f32 v8, vcc, v6, s16, v6
	v_rcp_f32_e32 v9, v7
	v_fma_f32 v10, -v7, v9, 1.0
	v_fmac_f32_e32 v9, v10, v9
	v_mul_f32_e32 v10, v8, v9
	v_fma_f32 v11, -v7, v10, v8
	v_fmac_f32_e32 v10, v11, v9
	v_fma_f32 v7, -v7, v10, v8
	v_div_fmas_f32 v7, v7, v9, v10
	v_div_fixup_f32 v6, v7, s16, v6
.LBB31_664:
	s_or_b64 exec, exec, s[14:15]
	v_add_f32_e32 v6, v6, v16
	v_cndmask_b32_e64 v7, v16, v6, s[4:5]
	v_mbcnt_lo_u32_b32 v6, -1, 0
	v_mbcnt_hi_u32_b32 v6, -1, v6
	v_and_b32_e32 v10, 63, v6
	v_cmp_ne_u32_e32 vcc, 63, v10
	v_addc_co_u32_e32 v8, vcc, 0, v6, vcc
	v_lshlrev_b32_e32 v8, 2, v8
	ds_bpermute_b32 v9, v8, v7
	v_min_u32_e32 v8, 0x100, v12
	v_and_b32_e32 v11, 0x3c0, v14
	v_sub_u32_e64 v11, v8, v11 clamp
	v_add_u32_e32 v12, 1, v10
	v_cmp_gt_u32_e64 s[4:5], 62, v10
	s_waitcnt lgkmcnt(0)
	v_add_f32_e32 v9, v7, v9
	v_cmp_lt_u32_e32 vcc, v12, v11
	v_cndmask_b32_e64 v12, 0, 2, s[4:5]
	v_cndmask_b32_e32 v9, v7, v9, vcc
	v_add_lshl_u32 v12, v12, v6, 2
	ds_bpermute_b32 v12, v12, v9
	v_add_u32_e32 v15, 2, v10
	v_cmp_lt_u32_e64 s[4:5], v15, v11
	v_add_u32_e32 v15, 4, v10
	s_waitcnt lgkmcnt(0)
	v_add_f32_e32 v12, v9, v12
	v_cndmask_b32_e64 v9, v9, v12, s[4:5]
	v_cmp_gt_u32_e64 s[4:5], 60, v10
	v_cndmask_b32_e64 v12, 0, 4, s[4:5]
	v_add_lshl_u32 v12, v12, v6, 2
	ds_bpermute_b32 v12, v12, v9
	v_cmp_lt_u32_e64 s[4:5], v15, v11
	v_add_u32_e32 v15, 8, v10
	s_waitcnt lgkmcnt(0)
	v_add_f32_e32 v12, v9, v12
	v_cndmask_b32_e64 v9, v9, v12, s[4:5]
	v_cmp_gt_u32_e64 s[4:5], 56, v10
	v_cndmask_b32_e64 v12, 0, 8, s[4:5]
	v_add_lshl_u32 v12, v12, v6, 2
	ds_bpermute_b32 v12, v12, v9
	;; [unrolled: 9-line block ×3, first 2 shown]
	v_cmp_lt_u32_e64 s[4:5], v15, v11
	v_add_u32_e32 v10, 32, v10
	s_waitcnt lgkmcnt(0)
	v_add_f32_e32 v12, v9, v12
	v_cndmask_b32_e64 v12, v9, v12, s[4:5]
	v_lshlrev_b32_e32 v9, 2, v6
	v_or_b32_e32 v15, 0x80, v9
	ds_bpermute_b32 v15, v15, v12
	v_cmp_lt_u32_e64 s[4:5], v10, v11
	s_waitcnt lgkmcnt(0)
	v_add_f32_e32 v15, v12, v15
	v_cndmask_b32_e64 v10, v12, v15, s[4:5]
	v_cndmask_b32_e32 v7, v7, v10, vcc
	v_cmp_eq_u32_e32 vcc, 0, v6
	s_and_saveexec_b64 s[4:5], vcc
; %bb.665:
	v_lshrrev_b32_e32 v10, 4, v14
	v_and_b32_e32 v10, 60, v10
	ds_write_b32 v10, v7 offset:96
; %bb.666:
	s_or_b64 exec, exec, s[4:5]
	v_cmp_gt_u32_e32 vcc, 4, v14
	s_waitcnt lgkmcnt(0)
	s_barrier
	s_and_saveexec_b64 s[6:7], vcc
	s_cbranch_execz .LBB31_668
; %bb.667:
	ds_read_b32 v7, v9 offset:96
	v_and_b32_e32 v10, 3, v6
	v_cmp_ne_u32_e32 vcc, 3, v10
	v_addc_co_u32_e32 v6, vcc, 0, v6, vcc
	v_lshlrev_b32_e32 v6, 2, v6
	s_waitcnt lgkmcnt(0)
	ds_bpermute_b32 v6, v6, v7
	v_add_u32_e32 v8, 63, v8
	v_lshrrev_b32_e32 v8, 6, v8
	v_add_u32_e32 v11, 1, v10
	v_cmp_lt_u32_e32 vcc, v11, v8
	s_waitcnt lgkmcnt(0)
	v_add_f32_e32 v6, v7, v6
	v_cndmask_b32_e32 v6, v7, v6, vcc
	v_or_b32_e32 v9, 8, v9
	ds_bpermute_b32 v9, v9, v6
	v_add_u32_e32 v10, 2, v10
	v_cmp_lt_u32_e64 s[4:5], v10, v8
	s_waitcnt lgkmcnt(0)
	v_add_f32_e32 v9, v6, v9
	v_cndmask_b32_e64 v6, v6, v9, s[4:5]
	v_cndmask_b32_e32 v7, v7, v6, vcc
.LBB31_668:
	s_or_b64 exec, exec, s[6:7]
	s_or_b64 exec, exec, s[10:11]
	v_cmp_eq_u32_e32 vcc, 0, v14
	s_and_b64 exec, exec, vcc
	s_cbranch_execnz .LBB31_9
	s_branch .LBB31_10
.LBB31_669:
	s_or_b64 exec, exec, s[10:11]
	v_add_u32_e32 v6, 0x80000001, v10
	v_min_u32_e32 v6, v6, v10
	v_add_u32_e32 v7, 0x80000001, v6
	v_min_u32_e32 v8, v7, v6
.LBB31_670:
	s_or_b64 exec, exec, s[6:7]
	v_mov_b32_e32 v7, 0
	s_movk_i32 s10, 0x1388
	s_mov_b32 s11, 0xbc8f1391
	s_mov_b32 s18, 0xbc8f
	s_brev_b32 s19, 12
	s_mov_b32 s20, 0xf800000
	v_mov_b32_e32 v6, 0x260
.LBB31_671:                             ; =>This Inner Loop Header: Depth=1
	v_mul_hi_u32 v9, v8, s11
	v_add_f32_e32 v10, 1.0, v7
	s_add_i32 s10, s10, -2
	s_cmp_lg_u32 s10, 0
	v_lshrrev_b32_e32 v9, 15, v9
	v_mul_u32_u24_e32 v11, 0xadc8, v9
	v_sub_u32_e32 v8, v8, v11
	v_mul_lo_u32 v8, v8, s18
	v_mul_u32_u24_e32 v9, 0xd47, v9
	v_xor_b32_e32 v11, 0x7fffffff, v9
	v_sub_u32_e32 v17, 0, v9
	v_cmp_lt_u32_e32 vcc, v8, v9
	v_cndmask_b32_e32 v9, v17, v11, vcc
	v_add_u32_e32 v8, v9, v8
	v_mul_hi_u32 v11, v8, s11
	v_add_u32_e32 v9, -1, v8
	v_cvt_f32_u32_e32 v9, v9
	v_lshrrev_b32_e32 v11, 15, v11
	v_mul_u32_u24_e32 v17, 0xadc8, v11
	v_sub_u32_e32 v8, v8, v17
	v_mul_lo_u32 v8, v8, s18
	v_mul_u32_u24_e32 v11, 0xd47, v11
	v_xor_b32_e32 v17, 0x7fffffff, v11
	v_sub_u32_e32 v20, 0, v11
	v_cmp_lt_u32_e32 vcc, v8, v11
	v_cndmask_b32_e32 v11, v20, v17, vcc
	v_add_u32_e32 v8, v11, v8
	v_mul_hi_u32 v17, v8, s11
	v_add_u32_e32 v11, -1, v8
	v_cvt_f32_u32_e32 v11, v11
	v_fma_f32 v9, v9, s19, 0
	v_lshrrev_b32_e32 v17, 15, v17
	v_mul_u32_u24_e32 v20, 0xadc8, v17
	v_fma_f32 v11, v11, s19, 0
	v_sub_u32_e32 v8, v8, v20
	v_mul_f32_e32 v11, v11, v11
	v_mul_lo_u32 v8, v8, s18
	v_fmac_f32_e32 v11, v9, v9
	v_mul_f32_e32 v9, 0x4f800000, v11
	v_cmp_gt_f32_e32 vcc, s20, v11
	v_mul_u32_u24_e32 v17, 0xd47, v17
	v_cndmask_b32_e32 v9, v11, v9, vcc
	v_xor_b32_e32 v20, 0x7fffffff, v17
	v_sub_u32_e32 v21, 0, v17
	v_sqrt_f32_e32 v11, v9
	v_cmp_lt_u32_e64 s[6:7], v8, v17
	v_cndmask_b32_e64 v17, v21, v20, s[6:7]
	v_add_u32_e32 v8, v17, v8
	v_mul_hi_u32 v20, v8, s11
	v_add_u32_e32 v21, -1, v11
	v_add_u32_e32 v22, 1, v11
	v_fma_f32 v23, -v21, v11, v9
	v_fma_f32 v24, -v22, v11, v9
	v_cmp_ge_f32_e64 s[6:7], 0, v23
	v_cndmask_b32_e64 v11, v11, v21, s[6:7]
	v_cmp_lt_f32_e64 s[6:7], 0, v24
	v_lshrrev_b32_e32 v20, 15, v20
	v_cndmask_b32_e64 v11, v11, v22, s[6:7]
	v_mul_u32_u24_e32 v22, 0xadc8, v20
	v_add_u32_e32 v17, -1, v8
	v_sub_u32_e32 v8, v8, v22
	v_mul_f32_e32 v21, 0x37800000, v11
	v_mul_lo_u32 v8, v8, s18
	v_cndmask_b32_e32 v11, v11, v21, vcc
	v_cmp_class_f32_e32 vcc, v9, v6
	v_cndmask_b32_e32 v9, v11, v9, vcc
	v_mul_u32_u24_e32 v20, 0xd47, v20
	v_cmp_nge_f32_e32 vcc, 1.0, v9
	v_xor_b32_e32 v21, 0x7fffffff, v20
	v_sub_u32_e32 v22, 0, v20
	v_cndmask_b32_e32 v7, v10, v7, vcc
	v_cmp_lt_u32_e32 vcc, v8, v20
	v_cndmask_b32_e32 v10, v22, v21, vcc
	v_add_u32_e32 v8, v10, v8
	v_add_u32_e32 v10, -1, v8
	v_cvt_f32_u32_e32 v10, v10
	v_cvt_f32_u32_e32 v17, v17
	v_add_f32_e32 v9, 1.0, v7
	v_fma_f32 v10, v10, s19, 0
	v_fma_f32 v17, v17, s19, 0
	v_mul_f32_e32 v10, v10, v10
	v_fmac_f32_e32 v10, v17, v17
	v_mul_f32_e32 v11, 0x4f800000, v10
	v_cmp_gt_f32_e32 vcc, s20, v10
	v_cndmask_b32_e32 v10, v10, v11, vcc
	v_sqrt_f32_e32 v11, v10
	v_add_u32_e32 v17, -1, v11
	v_add_u32_e32 v20, 1, v11
	v_fma_f32 v21, -v17, v11, v10
	v_fma_f32 v22, -v20, v11, v10
	v_cmp_ge_f32_e64 s[6:7], 0, v21
	v_cndmask_b32_e64 v11, v11, v17, s[6:7]
	v_cmp_lt_f32_e64 s[6:7], 0, v22
	v_cndmask_b32_e64 v11, v11, v20, s[6:7]
	v_mul_f32_e32 v17, 0x37800000, v11
	v_cndmask_b32_e32 v11, v11, v17, vcc
	v_cmp_class_f32_e32 vcc, v10, v6
	v_cndmask_b32_e32 v10, v11, v10, vcc
	v_cmp_nge_f32_e32 vcc, 1.0, v10
	v_cndmask_b32_e32 v7, v9, v7, vcc
	s_cbranch_scc1 .LBB31_671
; %bb.672:
	v_mul_f32_e32 v6, 4.0, v7
	s_mov_b32 s10, 0x459c4000
	v_div_scale_f32 v7, s[6:7], s10, s10, v6
	v_div_scale_f32 v8, vcc, v6, s10, v6
	v_rcp_f32_e32 v9, v7
	v_fma_f32 v10, -v7, v9, 1.0
	v_fmac_f32_e32 v9, v10, v9
	v_mul_f32_e32 v10, v8, v9
	v_fma_f32 v11, -v7, v10, v8
	v_fmac_f32_e32 v10, v11, v9
	v_fma_f32 v7, -v7, v10, v8
	v_div_fmas_f32 v7, v7, v9, v10
	v_div_fixup_f32 v17, v7, s10, v6
.LBB31_673:
	s_or_b64 exec, exec, s[8:9]
	v_add_u32_e32 v6, 0x200, v14
	v_cmp_lt_u32_e64 s[6:7], v6, v12
	s_and_saveexec_b64 s[10:11], s[6:7]
	s_cbranch_execz .LBB31_713
; %bb.674:
	v_add_u32_e32 v6, v15, v6
	s_movk_i32 s8, 0x1388
	v_mul_lo_u32 v6, v6, s8
	v_mov_b32_e32 v8, 1
	v_cmp_ne_u32_e32 vcc, 0, v6
	s_and_saveexec_b64 s[8:9], vcc
	s_cbranch_execz .LBB31_710
; %bb.675:
	v_mov_b32_e32 v7, 0
	v_mov_b32_e32 v10, 1
	;; [unrolled: 1-line block ×3, first 2 shown]
	s_mov_b64 s[20:21], 0xbc8f
	v_mov_b32_e32 v11, 0
	s_mov_b64 s[18:19], 0
	s_brev_b32 s24, -2
	v_mov_b32_e32 v8, v6
	s_branch .LBB31_677
.LBB31_676:                             ;   in Loop: Header=BB31_677 Depth=1
	s_or_b64 exec, exec, s[22:23]
	s_mul_i32 s21, s20, s21
	s_mul_hi_u32 s22, s20, s20
	s_add_i32 s22, s22, s21
	s_add_i32 s22, s22, s21
	s_mul_i32 s23, s20, s20
	s_mul_i32 s21, s22, 3
	s_mul_hi_u32 s25, s23, 3
	s_mul_hi_u32 s20, s22, 3
	s_add_u32 s21, s21, s25
	s_addc_u32 s20, s20, 0
	s_mul_i32 s26, s23, 0x80000001
	s_mul_hi_u32 s25, s23, 0x80000001
	s_add_u32 s21, s26, s21
	s_addc_u32 s21, s25, 0
	s_add_u32 s20, s20, s21
	s_addc_u32 s21, 0, 0
	s_mul_i32 s26, s22, 0x80000001
	s_mul_hi_u32 s25, s22, 0x80000001
	s_add_u32 s20, s26, s20
	s_addc_u32 s21, s25, s21
	s_lshr_b32 s25, s21, 30
	s_lshr_b64 s[20:21], s[20:21], 30
	s_mul_i32 s25, s25, 0x7fffffff
	s_mul_hi_u32 s21, s20, 0x7fffffff
	v_lshrrev_b64 v[20:21], 1, v[8:9]
	s_add_i32 s21, s21, s25
	s_mul_i32 s20, s20, 0x7fffffff
	s_sub_u32 s20, s23, s20
	v_cmp_gt_u64_e32 vcc, 2, v[8:9]
	s_subb_u32 s21, s22, s21
	v_mov_b32_e32 v8, v20
	s_or_b64 s[18:19], vcc, s[18:19]
	v_mov_b32_e32 v9, v21
	s_andn2_b64 exec, exec, s[18:19]
	s_cbranch_execz .LBB31_709
.LBB31_677:                             ; =>This Inner Loop Header: Depth=1
	v_and_b32_e32 v6, 1, v8
	v_cmp_eq_u32_e32 vcc, 1, v6
	s_and_saveexec_b64 s[22:23], vcc
	s_cbranch_execz .LBB31_676
; %bb.678:                              ;   in Loop: Header=BB31_677 Depth=1
	v_mad_u64_u32 v[20:21], s[26:27], s20, v10, 0
	v_mul_lo_u32 v10, s21, v10
	v_mul_lo_u32 v11, s20, v11
	v_mul_hi_u32 v6, v20, 5
	v_add3_u32 v18, v21, v11, v10
	v_mad_u64_u32 v[10:11], s[26:27], v18, 5, v[6:7]
	v_mov_b32_e32 v6, v10
	v_mad_u64_u32 v[21:22], s[26:27], v20, 2, v[6:7]
	v_add_co_u32_e32 v10, vcc, v11, v22
	v_addc_co_u32_e64 v11, s[26:27], 0, 0, vcc
	v_mad_u64_u32 v[10:11], s[26:27], v18, 2, v[10:11]
	v_sub_co_u32_e32 v21, vcc, v20, v10
	v_subb_co_u32_e32 v22, vcc, v18, v11, vcc
	v_lshrrev_b64 v[21:22], 1, v[21:22]
	v_add_co_u32_e32 v6, vcc, v21, v10
	v_addc_co_u32_e32 v21, vcc, v22, v11, vcc
	v_alignbit_b32 v6, v21, v6, 30
	v_mad_u64_u32 v[10:11], s[26:27], v6, s24, 0
	v_lshrrev_b32_e32 v21, 30, v21
	v_mov_b32_e32 v6, v11
	v_mad_u64_u32 v[21:22], s[26:27], v21, s24, v[6:7]
	v_sub_co_u32_e32 v10, vcc, v20, v10
	v_subb_co_u32_e32 v11, vcc, v18, v21, vcc
	s_branch .LBB31_676
.LBB31_679:
	s_or_b64 exec, exec, s[10:11]
	v_add_u32_e32 v6, 0x80000001, v10
	v_min_u32_e32 v6, v6, v10
	v_add_u32_e32 v7, 0x80000001, v6
	v_min_u32_e32 v8, v7, v6
.LBB31_680:
	s_or_b64 exec, exec, s[6:7]
	v_mov_b32_e32 v7, 0
	s_movk_i32 s10, 0x1388
	s_mov_b32 s11, 0xbc8f1391
	s_mov_b32 s14, 0xbc8f
	s_brev_b32 s15, 12
	s_mov_b32 s16, 0xf800000
	v_mov_b32_e32 v6, 0x260
.LBB31_681:                             ; =>This Inner Loop Header: Depth=1
	v_mul_hi_u32 v9, v8, s11
	v_add_f32_e32 v10, 1.0, v7
	s_add_i32 s10, s10, -2
	s_cmp_lg_u32 s10, 0
	v_lshrrev_b32_e32 v9, 15, v9
	v_mul_u32_u24_e32 v11, 0xadc8, v9
	v_sub_u32_e32 v8, v8, v11
	v_mul_lo_u32 v8, v8, s14
	v_mul_u32_u24_e32 v9, 0xd47, v9
	v_xor_b32_e32 v11, 0x7fffffff, v9
	v_sub_u32_e32 v17, 0, v9
	v_cmp_lt_u32_e32 vcc, v8, v9
	v_cndmask_b32_e32 v9, v17, v11, vcc
	v_add_u32_e32 v8, v9, v8
	v_mul_hi_u32 v11, v8, s11
	v_add_u32_e32 v9, -1, v8
	v_cvt_f32_u32_e32 v9, v9
	v_lshrrev_b32_e32 v11, 15, v11
	v_mul_u32_u24_e32 v17, 0xadc8, v11
	v_sub_u32_e32 v8, v8, v17
	v_mul_lo_u32 v8, v8, s14
	v_mul_u32_u24_e32 v11, 0xd47, v11
	v_xor_b32_e32 v17, 0x7fffffff, v11
	v_sub_u32_e32 v24, 0, v11
	v_cmp_lt_u32_e32 vcc, v8, v11
	v_cndmask_b32_e32 v11, v24, v17, vcc
	v_add_u32_e32 v8, v11, v8
	v_mul_hi_u32 v17, v8, s11
	v_add_u32_e32 v11, -1, v8
	v_cvt_f32_u32_e32 v11, v11
	v_fma_f32 v9, v9, s15, 0
	v_lshrrev_b32_e32 v17, 15, v17
	v_mul_u32_u24_e32 v24, 0xadc8, v17
	v_fma_f32 v11, v11, s15, 0
	v_sub_u32_e32 v8, v8, v24
	v_mul_f32_e32 v11, v11, v11
	v_mul_lo_u32 v8, v8, s14
	v_fmac_f32_e32 v11, v9, v9
	v_mul_f32_e32 v9, 0x4f800000, v11
	v_cmp_gt_f32_e32 vcc, s16, v11
	v_mul_u32_u24_e32 v17, 0xd47, v17
	v_cndmask_b32_e32 v9, v11, v9, vcc
	v_xor_b32_e32 v24, 0x7fffffff, v17
	v_sub_u32_e32 v25, 0, v17
	v_sqrt_f32_e32 v11, v9
	v_cmp_lt_u32_e64 s[6:7], v8, v17
	v_cndmask_b32_e64 v17, v25, v24, s[6:7]
	v_add_u32_e32 v8, v17, v8
	v_mul_hi_u32 v24, v8, s11
	v_add_u32_e32 v25, -1, v11
	v_add_u32_e32 v26, 1, v11
	v_fma_f32 v27, -v25, v11, v9
	v_fma_f32 v28, -v26, v11, v9
	v_cmp_ge_f32_e64 s[6:7], 0, v27
	v_cndmask_b32_e64 v11, v11, v25, s[6:7]
	v_cmp_lt_f32_e64 s[6:7], 0, v28
	v_lshrrev_b32_e32 v24, 15, v24
	v_cndmask_b32_e64 v11, v11, v26, s[6:7]
	v_mul_u32_u24_e32 v26, 0xadc8, v24
	v_add_u32_e32 v17, -1, v8
	v_sub_u32_e32 v8, v8, v26
	v_mul_f32_e32 v25, 0x37800000, v11
	v_mul_lo_u32 v8, v8, s14
	v_cndmask_b32_e32 v11, v11, v25, vcc
	v_cmp_class_f32_e32 vcc, v9, v6
	v_cndmask_b32_e32 v9, v11, v9, vcc
	v_mul_u32_u24_e32 v24, 0xd47, v24
	v_cmp_nge_f32_e32 vcc, 1.0, v9
	v_xor_b32_e32 v25, 0x7fffffff, v24
	v_sub_u32_e32 v26, 0, v24
	v_cndmask_b32_e32 v7, v10, v7, vcc
	v_cmp_lt_u32_e32 vcc, v8, v24
	v_cndmask_b32_e32 v10, v26, v25, vcc
	v_add_u32_e32 v8, v10, v8
	v_add_u32_e32 v10, -1, v8
	v_cvt_f32_u32_e32 v10, v10
	v_cvt_f32_u32_e32 v17, v17
	v_add_f32_e32 v9, 1.0, v7
	v_fma_f32 v10, v10, s15, 0
	v_fma_f32 v17, v17, s15, 0
	v_mul_f32_e32 v10, v10, v10
	v_fmac_f32_e32 v10, v17, v17
	v_mul_f32_e32 v11, 0x4f800000, v10
	v_cmp_gt_f32_e32 vcc, s16, v10
	v_cndmask_b32_e32 v10, v10, v11, vcc
	v_sqrt_f32_e32 v11, v10
	v_add_u32_e32 v17, -1, v11
	v_add_u32_e32 v24, 1, v11
	v_fma_f32 v25, -v17, v11, v10
	v_fma_f32 v26, -v24, v11, v10
	v_cmp_ge_f32_e64 s[6:7], 0, v25
	v_cndmask_b32_e64 v11, v11, v17, s[6:7]
	v_cmp_lt_f32_e64 s[6:7], 0, v26
	v_cndmask_b32_e64 v11, v11, v24, s[6:7]
	v_mul_f32_e32 v17, 0x37800000, v11
	v_cndmask_b32_e32 v11, v11, v17, vcc
	v_cmp_class_f32_e32 vcc, v10, v6
	v_cndmask_b32_e32 v10, v11, v10, vcc
	v_cmp_nge_f32_e32 vcc, 1.0, v10
	v_cndmask_b32_e32 v7, v9, v7, vcc
	s_cbranch_scc1 .LBB31_681
; %bb.682:
	v_mul_f32_e32 v6, 4.0, v7
	s_mov_b32 s10, 0x459c4000
	v_div_scale_f32 v7, s[6:7], s10, s10, v6
	v_div_scale_f32 v8, vcc, v6, s10, v6
	v_rcp_f32_e32 v9, v7
	v_fma_f32 v10, -v7, v9, 1.0
	v_fmac_f32_e32 v9, v10, v9
	v_mul_f32_e32 v10, v8, v9
	v_fma_f32 v11, -v7, v10, v8
	v_fmac_f32_e32 v10, v11, v9
	v_fma_f32 v7, -v7, v10, v8
	v_div_fmas_f32 v7, v7, v9, v10
	v_div_fixup_f32 v17, v7, s10, v6
.LBB31_683:
	s_or_b64 exec, exec, s[8:9]
	v_add_u32_e32 v6, 0x200, v14
	v_cmp_lt_u32_e64 s[6:7], v6, v12
	s_and_saveexec_b64 s[10:11], s[6:7]
	s_cbranch_execz .LBB31_723
; %bb.684:
	v_add_u32_e32 v6, v15, v6
	s_movk_i32 s8, 0x1388
	v_mul_lo_u32 v6, v6, s8
	v_mov_b32_e32 v8, 1
	v_cmp_ne_u32_e32 vcc, 0, v6
	s_and_saveexec_b64 s[8:9], vcc
	s_cbranch_execz .LBB31_720
; %bb.685:
	v_mov_b32_e32 v7, 0
	v_mov_b32_e32 v10, 1
	;; [unrolled: 1-line block ×3, first 2 shown]
	s_mov_b64 s[16:17], 0xbc8f
	v_mov_b32_e32 v11, 0
	s_mov_b64 s[14:15], 0
	s_brev_b32 s20, -2
	v_mov_b32_e32 v8, v6
	s_branch .LBB31_687
.LBB31_686:                             ;   in Loop: Header=BB31_687 Depth=1
	s_or_b64 exec, exec, s[18:19]
	s_mul_i32 s17, s16, s17
	s_mul_hi_u32 s18, s16, s16
	s_add_i32 s18, s18, s17
	s_add_i32 s18, s18, s17
	s_mul_i32 s19, s16, s16
	s_mul_i32 s17, s18, 3
	s_mul_hi_u32 s21, s19, 3
	s_mul_hi_u32 s16, s18, 3
	s_add_u32 s17, s17, s21
	s_addc_u32 s16, s16, 0
	s_mul_i32 s26, s19, 0x80000001
	s_mul_hi_u32 s21, s19, 0x80000001
	s_add_u32 s17, s26, s17
	s_addc_u32 s17, s21, 0
	s_add_u32 s16, s16, s17
	s_addc_u32 s17, 0, 0
	s_mul_i32 s26, s18, 0x80000001
	s_mul_hi_u32 s21, s18, 0x80000001
	s_add_u32 s16, s26, s16
	s_addc_u32 s17, s21, s17
	s_lshr_b32 s21, s17, 30
	s_lshr_b64 s[16:17], s[16:17], 30
	s_mul_i32 s21, s21, 0x7fffffff
	s_mul_hi_u32 s17, s16, 0x7fffffff
	v_lshrrev_b64 v[24:25], 1, v[8:9]
	s_add_i32 s17, s17, s21
	s_mul_i32 s16, s16, 0x7fffffff
	s_sub_u32 s16, s19, s16
	v_cmp_gt_u64_e32 vcc, 2, v[8:9]
	s_subb_u32 s17, s18, s17
	v_mov_b32_e32 v8, v24
	s_or_b64 s[14:15], vcc, s[14:15]
	v_mov_b32_e32 v9, v25
	s_andn2_b64 exec, exec, s[14:15]
	s_cbranch_execz .LBB31_719
.LBB31_687:                             ; =>This Inner Loop Header: Depth=1
	v_and_b32_e32 v6, 1, v8
	v_cmp_eq_u32_e32 vcc, 1, v6
	s_and_saveexec_b64 s[18:19], vcc
	s_cbranch_execz .LBB31_686
; %bb.688:                              ;   in Loop: Header=BB31_687 Depth=1
	v_mad_u64_u32 v[24:25], s[26:27], s16, v10, 0
	v_mul_lo_u32 v10, s17, v10
	v_mul_lo_u32 v11, s16, v11
	v_mul_hi_u32 v6, v24, 5
	v_add3_u32 v18, v25, v11, v10
	v_mad_u64_u32 v[10:11], s[26:27], v18, 5, v[6:7]
	v_mov_b32_e32 v6, v10
	v_mad_u64_u32 v[25:26], s[26:27], v24, 2, v[6:7]
	v_add_co_u32_e32 v10, vcc, v11, v26
	v_addc_co_u32_e64 v11, s[26:27], 0, 0, vcc
	v_mad_u64_u32 v[10:11], s[26:27], v18, 2, v[10:11]
	v_sub_co_u32_e32 v25, vcc, v24, v10
	v_subb_co_u32_e32 v26, vcc, v18, v11, vcc
	v_lshrrev_b64 v[25:26], 1, v[25:26]
	v_add_co_u32_e32 v6, vcc, v25, v10
	v_addc_co_u32_e32 v25, vcc, v26, v11, vcc
	v_alignbit_b32 v6, v25, v6, 30
	v_mad_u64_u32 v[10:11], s[26:27], v6, s20, 0
	v_lshrrev_b32_e32 v25, 30, v25
	v_mov_b32_e32 v6, v11
	v_mad_u64_u32 v[25:26], s[26:27], v25, s20, v[6:7]
	v_sub_co_u32_e32 v10, vcc, v24, v10
	v_subb_co_u32_e32 v11, vcc, v18, v25, vcc
	s_branch .LBB31_686
.LBB31_689:
	s_or_b64 exec, exec, s[10:11]
	v_add_u32_e32 v6, 0x80000001, v10
	v_min_u32_e32 v6, v6, v10
	v_add_u32_e32 v7, 0x80000001, v6
	v_min_u32_e32 v8, v7, v6
.LBB31_690:
	s_or_b64 exec, exec, s[6:7]
	v_mov_b32_e32 v7, 0
	s_movk_i32 s10, 0x1388
	s_mov_b32 s11, 0xbc8f1391
	s_mov_b32 s14, 0xbc8f
	s_brev_b32 s15, 12
	s_mov_b32 s16, 0xf800000
	v_mov_b32_e32 v6, 0x260
.LBB31_691:                             ; =>This Inner Loop Header: Depth=1
	v_mul_hi_u32 v9, v8, s11
	v_add_f32_e32 v10, 1.0, v7
	s_add_i32 s10, s10, -2
	s_cmp_lg_u32 s10, 0
	v_lshrrev_b32_e32 v9, 15, v9
	v_mul_u32_u24_e32 v11, 0xadc8, v9
	v_sub_u32_e32 v8, v8, v11
	v_mul_lo_u32 v8, v8, s14
	v_mul_u32_u24_e32 v9, 0xd47, v9
	v_xor_b32_e32 v11, 0x7fffffff, v9
	v_sub_u32_e32 v17, 0, v9
	v_cmp_lt_u32_e32 vcc, v8, v9
	v_cndmask_b32_e32 v9, v17, v11, vcc
	v_add_u32_e32 v8, v9, v8
	v_mul_hi_u32 v11, v8, s11
	v_add_u32_e32 v9, -1, v8
	v_cvt_f32_u32_e32 v9, v9
	v_lshrrev_b32_e32 v11, 15, v11
	v_mul_u32_u24_e32 v17, 0xadc8, v11
	v_sub_u32_e32 v8, v8, v17
	v_mul_lo_u32 v8, v8, s14
	v_mul_u32_u24_e32 v11, 0xd47, v11
	v_xor_b32_e32 v17, 0x7fffffff, v11
	v_sub_u32_e32 v33, 0, v11
	v_cmp_lt_u32_e32 vcc, v8, v11
	v_cndmask_b32_e32 v11, v33, v17, vcc
	v_add_u32_e32 v8, v11, v8
	v_mul_hi_u32 v17, v8, s11
	v_add_u32_e32 v11, -1, v8
	v_cvt_f32_u32_e32 v11, v11
	v_fma_f32 v9, v9, s15, 0
	v_lshrrev_b32_e32 v17, 15, v17
	v_mul_u32_u24_e32 v33, 0xadc8, v17
	v_fma_f32 v11, v11, s15, 0
	v_sub_u32_e32 v8, v8, v33
	v_mul_f32_e32 v11, v11, v11
	v_mul_lo_u32 v8, v8, s14
	v_fmac_f32_e32 v11, v9, v9
	v_mul_f32_e32 v9, 0x4f800000, v11
	v_cmp_gt_f32_e32 vcc, s16, v11
	v_mul_u32_u24_e32 v17, 0xd47, v17
	v_cndmask_b32_e32 v9, v11, v9, vcc
	v_xor_b32_e32 v33, 0x7fffffff, v17
	v_sub_u32_e32 v34, 0, v17
	v_sqrt_f32_e32 v11, v9
	v_cmp_lt_u32_e64 s[6:7], v8, v17
	v_cndmask_b32_e64 v17, v34, v33, s[6:7]
	v_add_u32_e32 v8, v17, v8
	v_mul_hi_u32 v33, v8, s11
	v_add_u32_e32 v34, -1, v11
	v_add_u32_e32 v35, 1, v11
	v_fma_f32 v36, -v34, v11, v9
	v_fma_f32 v37, -v35, v11, v9
	v_cmp_ge_f32_e64 s[6:7], 0, v36
	v_cndmask_b32_e64 v11, v11, v34, s[6:7]
	v_cmp_lt_f32_e64 s[6:7], 0, v37
	v_lshrrev_b32_e32 v33, 15, v33
	v_cndmask_b32_e64 v11, v11, v35, s[6:7]
	v_mul_u32_u24_e32 v35, 0xadc8, v33
	v_add_u32_e32 v17, -1, v8
	v_sub_u32_e32 v8, v8, v35
	v_mul_f32_e32 v34, 0x37800000, v11
	v_mul_lo_u32 v8, v8, s14
	v_cndmask_b32_e32 v11, v11, v34, vcc
	v_cmp_class_f32_e32 vcc, v9, v6
	v_cndmask_b32_e32 v9, v11, v9, vcc
	v_mul_u32_u24_e32 v33, 0xd47, v33
	v_cmp_nge_f32_e32 vcc, 1.0, v9
	v_xor_b32_e32 v34, 0x7fffffff, v33
	v_sub_u32_e32 v35, 0, v33
	v_cndmask_b32_e32 v7, v10, v7, vcc
	v_cmp_lt_u32_e32 vcc, v8, v33
	v_cndmask_b32_e32 v10, v35, v34, vcc
	v_add_u32_e32 v8, v10, v8
	v_add_u32_e32 v10, -1, v8
	v_cvt_f32_u32_e32 v10, v10
	v_cvt_f32_u32_e32 v17, v17
	v_add_f32_e32 v9, 1.0, v7
	v_fma_f32 v10, v10, s15, 0
	v_fma_f32 v17, v17, s15, 0
	v_mul_f32_e32 v10, v10, v10
	v_fmac_f32_e32 v10, v17, v17
	v_mul_f32_e32 v11, 0x4f800000, v10
	v_cmp_gt_f32_e32 vcc, s16, v10
	v_cndmask_b32_e32 v10, v10, v11, vcc
	v_sqrt_f32_e32 v11, v10
	v_add_u32_e32 v17, -1, v11
	v_add_u32_e32 v33, 1, v11
	v_fma_f32 v34, -v17, v11, v10
	v_fma_f32 v35, -v33, v11, v10
	v_cmp_ge_f32_e64 s[6:7], 0, v34
	v_cndmask_b32_e64 v11, v11, v17, s[6:7]
	v_cmp_lt_f32_e64 s[6:7], 0, v35
	v_cndmask_b32_e64 v11, v11, v33, s[6:7]
	v_mul_f32_e32 v17, 0x37800000, v11
	v_cndmask_b32_e32 v11, v11, v17, vcc
	v_cmp_class_f32_e32 vcc, v10, v6
	v_cndmask_b32_e32 v10, v11, v10, vcc
	v_cmp_nge_f32_e32 vcc, 1.0, v10
	v_cndmask_b32_e32 v7, v9, v7, vcc
	s_cbranch_scc1 .LBB31_691
; %bb.692:
	v_mul_f32_e32 v6, 4.0, v7
	s_mov_b32 s10, 0x459c4000
	v_div_scale_f32 v7, s[6:7], s10, s10, v6
	v_div_scale_f32 v8, vcc, v6, s10, v6
	v_rcp_f32_e32 v9, v7
	v_fma_f32 v10, -v7, v9, 1.0
	v_fmac_f32_e32 v9, v10, v9
	v_mul_f32_e32 v10, v8, v9
	v_fma_f32 v11, -v7, v10, v8
	v_fmac_f32_e32 v10, v11, v9
	v_fma_f32 v7, -v7, v10, v8
	v_div_fmas_f32 v7, v7, v9, v10
	v_div_fixup_f32 v17, v7, s10, v6
.LBB31_693:
	s_or_b64 exec, exec, s[8:9]
	v_add_u32_e32 v6, 0x200, v14
	v_cmp_lt_u32_e64 s[6:7], v6, v12
	s_and_saveexec_b64 s[10:11], s[6:7]
	s_cbranch_execz .LBB31_733
; %bb.694:
	v_add_u32_e32 v6, v15, v6
	s_movk_i32 s8, 0x1388
	v_mul_lo_u32 v6, v6, s8
	v_mov_b32_e32 v8, 1
	v_cmp_ne_u32_e32 vcc, 0, v6
	s_and_saveexec_b64 s[8:9], vcc
	s_cbranch_execz .LBB31_730
; %bb.695:
	v_mov_b32_e32 v7, 0
	v_mov_b32_e32 v10, 1
	;; [unrolled: 1-line block ×3, first 2 shown]
	s_mov_b64 s[16:17], 0xbc8f
	v_mov_b32_e32 v11, 0
	s_mov_b64 s[14:15], 0
	s_brev_b32 s20, -2
	v_mov_b32_e32 v8, v6
	s_branch .LBB31_697
.LBB31_696:                             ;   in Loop: Header=BB31_697 Depth=1
	s_or_b64 exec, exec, s[18:19]
	s_mul_i32 s17, s16, s17
	s_mul_hi_u32 s18, s16, s16
	s_add_i32 s18, s18, s17
	s_add_i32 s18, s18, s17
	s_mul_i32 s19, s16, s16
	s_mul_i32 s17, s18, 3
	s_mul_hi_u32 s21, s19, 3
	s_mul_hi_u32 s16, s18, 3
	s_add_u32 s17, s17, s21
	s_addc_u32 s16, s16, 0
	s_mul_i32 s22, s19, 0x80000001
	s_mul_hi_u32 s21, s19, 0x80000001
	s_add_u32 s17, s22, s17
	s_addc_u32 s17, s21, 0
	s_add_u32 s16, s16, s17
	s_addc_u32 s17, 0, 0
	s_mul_i32 s22, s18, 0x80000001
	s_mul_hi_u32 s21, s18, 0x80000001
	s_add_u32 s16, s22, s16
	s_addc_u32 s17, s21, s17
	s_lshr_b32 s21, s17, 30
	s_lshr_b64 s[16:17], s[16:17], 30
	s_mul_i32 s21, s21, 0x7fffffff
	s_mul_hi_u32 s17, s16, 0x7fffffff
	v_lshrrev_b64 v[33:34], 1, v[8:9]
	s_add_i32 s17, s17, s21
	s_mul_i32 s16, s16, 0x7fffffff
	s_sub_u32 s16, s19, s16
	v_cmp_gt_u64_e32 vcc, 2, v[8:9]
	s_subb_u32 s17, s18, s17
	v_mov_b32_e32 v8, v33
	s_or_b64 s[14:15], vcc, s[14:15]
	v_mov_b32_e32 v9, v34
	s_andn2_b64 exec, exec, s[14:15]
	s_cbranch_execz .LBB31_729
.LBB31_697:                             ; =>This Inner Loop Header: Depth=1
	v_and_b32_e32 v6, 1, v8
	v_cmp_eq_u32_e32 vcc, 1, v6
	s_and_saveexec_b64 s[18:19], vcc
	s_cbranch_execz .LBB31_696
; %bb.698:                              ;   in Loop: Header=BB31_697 Depth=1
	v_mad_u64_u32 v[33:34], s[22:23], s16, v10, 0
	v_mul_lo_u32 v10, s17, v10
	v_mul_lo_u32 v11, s16, v11
	v_mul_hi_u32 v6, v33, 5
	v_add3_u32 v18, v34, v11, v10
	v_mad_u64_u32 v[10:11], s[22:23], v18, 5, v[6:7]
	v_mov_b32_e32 v6, v10
	v_mad_u64_u32 v[34:35], s[22:23], v33, 2, v[6:7]
	v_add_co_u32_e32 v10, vcc, v11, v35
	v_addc_co_u32_e64 v11, s[22:23], 0, 0, vcc
	v_mad_u64_u32 v[10:11], s[22:23], v18, 2, v[10:11]
	v_sub_co_u32_e32 v34, vcc, v33, v10
	v_subb_co_u32_e32 v35, vcc, v18, v11, vcc
	v_lshrrev_b64 v[34:35], 1, v[34:35]
	v_add_co_u32_e32 v6, vcc, v34, v10
	v_addc_co_u32_e32 v34, vcc, v35, v11, vcc
	v_alignbit_b32 v6, v34, v6, 30
	v_mad_u64_u32 v[10:11], s[22:23], v6, s20, 0
	v_lshrrev_b32_e32 v34, 30, v34
	v_mov_b32_e32 v6, v11
	v_mad_u64_u32 v[34:35], s[22:23], v34, s20, v[6:7]
	v_sub_co_u32_e32 v10, vcc, v33, v10
	v_subb_co_u32_e32 v11, vcc, v18, v34, vcc
	s_branch .LBB31_696
.LBB31_699:
	s_or_b64 exec, exec, s[10:11]
	v_add_u32_e32 v4, 0x80000001, v8
	v_min_u32_e32 v4, v4, v8
	v_add_u32_e32 v5, 0x80000001, v4
	v_min_u32_e32 v6, v5, v4
.LBB31_700:
	s_or_b64 exec, exec, s[6:7]
	v_mov_b32_e32 v5, 0
	s_movk_i32 s10, 0x1388
	s_mov_b32 s11, 0xbc8f1391
	s_mov_b32 s14, 0xbc8f
	s_brev_b32 s15, 12
	s_mov_b32 s16, 0xf800000
	v_mov_b32_e32 v4, 0x260
.LBB31_701:                             ; =>This Inner Loop Header: Depth=1
	v_mul_hi_u32 v7, v6, s11
	v_add_f32_e32 v8, 1.0, v5
	s_add_i32 s10, s10, -2
	s_cmp_lg_u32 s10, 0
	v_lshrrev_b32_e32 v7, 15, v7
	v_mul_u32_u24_e32 v9, 0xadc8, v7
	v_sub_u32_e32 v6, v6, v9
	v_mul_lo_u32 v6, v6, s14
	v_mul_u32_u24_e32 v7, 0xd47, v7
	v_xor_b32_e32 v9, 0x7fffffff, v7
	v_sub_u32_e32 v15, 0, v7
	v_cmp_lt_u32_e32 vcc, v6, v7
	v_cndmask_b32_e32 v7, v15, v9, vcc
	v_add_u32_e32 v6, v7, v6
	v_mul_hi_u32 v9, v6, s11
	v_add_u32_e32 v7, -1, v6
	v_cvt_f32_u32_e32 v7, v7
	v_lshrrev_b32_e32 v9, 15, v9
	v_mul_u32_u24_e32 v15, 0xadc8, v9
	v_sub_u32_e32 v6, v6, v15
	v_mul_lo_u32 v6, v6, s14
	v_mul_u32_u24_e32 v9, 0xd47, v9
	v_xor_b32_e32 v15, 0x7fffffff, v9
	v_sub_u32_e32 v16, 0, v9
	v_cmp_lt_u32_e32 vcc, v6, v9
	v_cndmask_b32_e32 v9, v16, v15, vcc
	v_add_u32_e32 v6, v9, v6
	v_mul_hi_u32 v15, v6, s11
	v_add_u32_e32 v9, -1, v6
	v_cvt_f32_u32_e32 v9, v9
	v_fma_f32 v7, v7, s15, 0
	v_lshrrev_b32_e32 v15, 15, v15
	v_mul_u32_u24_e32 v16, 0xadc8, v15
	v_fma_f32 v9, v9, s15, 0
	v_sub_u32_e32 v6, v6, v16
	v_mul_f32_e32 v9, v9, v9
	v_mul_lo_u32 v6, v6, s14
	v_fmac_f32_e32 v9, v7, v7
	v_mul_f32_e32 v7, 0x4f800000, v9
	v_cmp_gt_f32_e32 vcc, s16, v9
	v_mul_u32_u24_e32 v15, 0xd47, v15
	v_cndmask_b32_e32 v7, v9, v7, vcc
	v_xor_b32_e32 v16, 0x7fffffff, v15
	v_sub_u32_e32 v17, 0, v15
	v_sqrt_f32_e32 v9, v7
	v_cmp_lt_u32_e64 s[6:7], v6, v15
	v_cndmask_b32_e64 v15, v17, v16, s[6:7]
	v_add_u32_e32 v6, v15, v6
	v_mul_hi_u32 v16, v6, s11
	v_add_u32_e32 v17, -1, v9
	v_add_u32_e32 v18, 1, v9
	v_fma_f32 v19, -v17, v9, v7
	v_fma_f32 v20, -v18, v9, v7
	v_cmp_ge_f32_e64 s[6:7], 0, v19
	v_cndmask_b32_e64 v9, v9, v17, s[6:7]
	v_cmp_lt_f32_e64 s[6:7], 0, v20
	v_lshrrev_b32_e32 v16, 15, v16
	v_cndmask_b32_e64 v9, v9, v18, s[6:7]
	v_mul_u32_u24_e32 v18, 0xadc8, v16
	v_add_u32_e32 v15, -1, v6
	v_sub_u32_e32 v6, v6, v18
	v_mul_f32_e32 v17, 0x37800000, v9
	v_mul_lo_u32 v6, v6, s14
	v_cndmask_b32_e32 v9, v9, v17, vcc
	v_cmp_class_f32_e32 vcc, v7, v4
	v_cndmask_b32_e32 v7, v9, v7, vcc
	v_mul_u32_u24_e32 v16, 0xd47, v16
	v_cmp_nge_f32_e32 vcc, 1.0, v7
	v_xor_b32_e32 v17, 0x7fffffff, v16
	v_sub_u32_e32 v18, 0, v16
	v_cndmask_b32_e32 v5, v8, v5, vcc
	v_cmp_lt_u32_e32 vcc, v6, v16
	v_cndmask_b32_e32 v8, v18, v17, vcc
	v_add_u32_e32 v6, v8, v6
	v_add_u32_e32 v8, -1, v6
	v_cvt_f32_u32_e32 v8, v8
	v_cvt_f32_u32_e32 v15, v15
	v_add_f32_e32 v7, 1.0, v5
	v_fma_f32 v8, v8, s15, 0
	v_fma_f32 v15, v15, s15, 0
	v_mul_f32_e32 v8, v8, v8
	v_fmac_f32_e32 v8, v15, v15
	v_mul_f32_e32 v9, 0x4f800000, v8
	v_cmp_gt_f32_e32 vcc, s16, v8
	v_cndmask_b32_e32 v8, v8, v9, vcc
	v_sqrt_f32_e32 v9, v8
	v_add_u32_e32 v15, -1, v9
	v_add_u32_e32 v16, 1, v9
	v_fma_f32 v17, -v15, v9, v8
	v_fma_f32 v18, -v16, v9, v8
	v_cmp_ge_f32_e64 s[6:7], 0, v17
	v_cndmask_b32_e64 v9, v9, v15, s[6:7]
	v_cmp_lt_f32_e64 s[6:7], 0, v18
	v_cndmask_b32_e64 v9, v9, v16, s[6:7]
	v_mul_f32_e32 v15, 0x37800000, v9
	v_cndmask_b32_e32 v9, v9, v15, vcc
	v_cmp_class_f32_e32 vcc, v8, v4
	v_cndmask_b32_e32 v8, v9, v8, vcc
	v_cmp_nge_f32_e32 vcc, 1.0, v8
	v_cndmask_b32_e32 v5, v7, v5, vcc
	s_cbranch_scc1 .LBB31_701
; %bb.702:
	v_mul_f32_e32 v4, 4.0, v5
	s_mov_b32 s10, 0x459c4000
	v_div_scale_f32 v5, s[6:7], s10, s10, v4
	v_div_scale_f32 v6, vcc, v4, s10, v4
	v_rcp_f32_e32 v7, v5
	v_fma_f32 v8, -v5, v7, 1.0
	v_fmac_f32_e32 v7, v8, v7
	v_mul_f32_e32 v8, v6, v7
	v_fma_f32 v9, -v5, v8, v6
	v_fmac_f32_e32 v8, v9, v7
	v_fma_f32 v5, -v5, v8, v6
	v_div_fmas_f32 v5, v5, v7, v8
	v_div_fixup_f32 v15, v5, s10, v4
.LBB31_703:
	s_or_b64 exec, exec, s[8:9]
	v_add_u32_e32 v4, 0x200, v12
	v_cmp_lt_u32_e64 s[6:7], v4, v10
                                        ; implicit-def: $vgpr16
	s_and_saveexec_b64 s[10:11], s[6:7]
	s_cbranch_execz .LBB31_743
; %bb.704:
	v_add_u32_e32 v4, v13, v4
	s_movk_i32 s8, 0x1388
	v_mul_lo_u32 v4, v4, s8
	v_mov_b32_e32 v6, 1
	v_cmp_ne_u32_e32 vcc, 0, v4
	s_and_saveexec_b64 s[8:9], vcc
	s_cbranch_execz .LBB31_740
; %bb.705:
	v_mov_b32_e32 v5, 0
	v_mov_b32_e32 v8, 1
	;; [unrolled: 1-line block ×3, first 2 shown]
	s_mov_b64 s[16:17], 0xbc8f
	v_mov_b32_e32 v9, 0
	s_mov_b64 s[14:15], 0
	s_brev_b32 s20, -2
	v_mov_b32_e32 v6, v4
	s_branch .LBB31_707
.LBB31_706:                             ;   in Loop: Header=BB31_707 Depth=1
	s_or_b64 exec, exec, s[18:19]
	s_mul_i32 s17, s16, s17
	s_mul_hi_u32 s18, s16, s16
	s_add_i32 s18, s18, s17
	s_add_i32 s18, s18, s17
	s_mul_i32 s19, s16, s16
	s_mul_i32 s17, s18, 3
	s_mul_hi_u32 s21, s19, 3
	s_mul_hi_u32 s16, s18, 3
	s_add_u32 s17, s17, s21
	s_addc_u32 s16, s16, 0
	s_mul_i32 s22, s19, 0x80000001
	s_mul_hi_u32 s21, s19, 0x80000001
	s_add_u32 s17, s22, s17
	s_addc_u32 s17, s21, 0
	s_add_u32 s16, s16, s17
	s_addc_u32 s17, 0, 0
	s_mul_i32 s22, s18, 0x80000001
	s_mul_hi_u32 s21, s18, 0x80000001
	s_add_u32 s16, s22, s16
	s_addc_u32 s17, s21, s17
	s_lshr_b32 s21, s17, 30
	s_lshr_b64 s[16:17], s[16:17], 30
	s_mul_i32 s21, s21, 0x7fffffff
	s_mul_hi_u32 s17, s16, 0x7fffffff
	v_lshrrev_b64 v[16:17], 1, v[6:7]
	s_add_i32 s17, s17, s21
	s_mul_i32 s16, s16, 0x7fffffff
	s_sub_u32 s16, s19, s16
	v_cmp_gt_u64_e32 vcc, 2, v[6:7]
	s_subb_u32 s17, s18, s17
	v_mov_b32_e32 v6, v16
	s_or_b64 s[14:15], vcc, s[14:15]
	v_mov_b32_e32 v7, v17
	s_andn2_b64 exec, exec, s[14:15]
	s_cbranch_execz .LBB31_739
.LBB31_707:                             ; =>This Inner Loop Header: Depth=1
	v_and_b32_e32 v4, 1, v6
	v_cmp_eq_u32_e32 vcc, 1, v4
	s_and_saveexec_b64 s[18:19], vcc
	s_cbranch_execz .LBB31_706
; %bb.708:                              ;   in Loop: Header=BB31_707 Depth=1
	v_mad_u64_u32 v[16:17], s[22:23], s16, v8, 0
	v_mul_lo_u32 v8, s17, v8
	v_mul_lo_u32 v9, s16, v9
	v_mul_hi_u32 v4, v16, 5
	v_add3_u32 v19, v17, v9, v8
	v_mad_u64_u32 v[8:9], s[22:23], v19, 5, v[4:5]
	v_mov_b32_e32 v4, v8
	v_mad_u64_u32 v[17:18], s[22:23], v16, 2, v[4:5]
	v_add_co_u32_e32 v8, vcc, v9, v18
	v_addc_co_u32_e64 v9, s[22:23], 0, 0, vcc
	v_mad_u64_u32 v[8:9], s[22:23], v19, 2, v[8:9]
	v_sub_co_u32_e32 v17, vcc, v16, v8
	v_subb_co_u32_e32 v18, vcc, v19, v9, vcc
	v_lshrrev_b64 v[17:18], 1, v[17:18]
	v_add_co_u32_e32 v4, vcc, v17, v8
	v_addc_co_u32_e32 v17, vcc, v18, v9, vcc
	v_alignbit_b32 v4, v17, v4, 30
	v_mad_u64_u32 v[8:9], s[22:23], v4, s20, 0
	v_lshrrev_b32_e32 v17, 30, v17
	v_mov_b32_e32 v4, v9
	v_mad_u64_u32 v[17:18], s[22:23], v17, s20, v[4:5]
	v_sub_co_u32_e32 v8, vcc, v16, v8
	v_subb_co_u32_e32 v9, vcc, v19, v17, vcc
	s_branch .LBB31_706
.LBB31_709:
	s_or_b64 exec, exec, s[18:19]
	v_add_u32_e32 v6, 0x80000001, v10
	v_min_u32_e32 v6, v6, v10
	v_add_u32_e32 v7, 0x80000001, v6
	v_min_u32_e32 v8, v7, v6
.LBB31_710:
	s_or_b64 exec, exec, s[8:9]
	v_mov_b32_e32 v7, 0
	s_movk_i32 s18, 0x1388
	s_mov_b32 s19, 0xbc8f1391
	s_mov_b32 s20, 0xbc8f
	s_brev_b32 s21, 12
	s_mov_b32 s22, 0xf800000
	v_mov_b32_e32 v6, 0x260
.LBB31_711:                             ; =>This Inner Loop Header: Depth=1
	v_mul_hi_u32 v9, v8, s19
	v_add_f32_e32 v10, 1.0, v7
	s_add_i32 s18, s18, -2
	s_cmp_lg_u32 s18, 0
	v_lshrrev_b32_e32 v9, 15, v9
	v_mul_u32_u24_e32 v11, 0xadc8, v9
	v_sub_u32_e32 v8, v8, v11
	v_mul_lo_u32 v8, v8, s20
	v_mul_u32_u24_e32 v9, 0xd47, v9
	v_xor_b32_e32 v11, 0x7fffffff, v9
	v_sub_u32_e32 v18, 0, v9
	v_cmp_lt_u32_e32 vcc, v8, v9
	v_cndmask_b32_e32 v9, v18, v11, vcc
	v_add_u32_e32 v8, v9, v8
	v_mul_hi_u32 v11, v8, s19
	v_add_u32_e32 v9, -1, v8
	v_cvt_f32_u32_e32 v9, v9
	v_lshrrev_b32_e32 v11, 15, v11
	v_mul_u32_u24_e32 v18, 0xadc8, v11
	v_sub_u32_e32 v8, v8, v18
	v_mul_lo_u32 v8, v8, s20
	v_mul_u32_u24_e32 v11, 0xd47, v11
	v_xor_b32_e32 v18, 0x7fffffff, v11
	v_sub_u32_e32 v20, 0, v11
	v_cmp_lt_u32_e32 vcc, v8, v11
	v_cndmask_b32_e32 v11, v20, v18, vcc
	v_add_u32_e32 v8, v11, v8
	v_mul_hi_u32 v18, v8, s19
	v_add_u32_e32 v11, -1, v8
	v_cvt_f32_u32_e32 v11, v11
	v_fma_f32 v9, v9, s21, 0
	v_lshrrev_b32_e32 v18, 15, v18
	v_mul_u32_u24_e32 v20, 0xadc8, v18
	v_fma_f32 v11, v11, s21, 0
	v_sub_u32_e32 v8, v8, v20
	v_mul_f32_e32 v11, v11, v11
	v_mul_lo_u32 v8, v8, s20
	v_fmac_f32_e32 v11, v9, v9
	v_mul_f32_e32 v9, 0x4f800000, v11
	v_cmp_gt_f32_e32 vcc, s22, v11
	v_mul_u32_u24_e32 v18, 0xd47, v18
	v_cndmask_b32_e32 v9, v11, v9, vcc
	v_xor_b32_e32 v20, 0x7fffffff, v18
	v_sub_u32_e32 v21, 0, v18
	v_sqrt_f32_e32 v11, v9
	v_cmp_lt_u32_e64 s[8:9], v8, v18
	v_cndmask_b32_e64 v18, v21, v20, s[8:9]
	v_add_u32_e32 v8, v18, v8
	v_mul_hi_u32 v20, v8, s19
	v_add_u32_e32 v21, -1, v11
	v_add_u32_e32 v22, 1, v11
	v_fma_f32 v23, -v21, v11, v9
	v_fma_f32 v24, -v22, v11, v9
	v_cmp_ge_f32_e64 s[8:9], 0, v23
	v_cndmask_b32_e64 v11, v11, v21, s[8:9]
	v_cmp_lt_f32_e64 s[8:9], 0, v24
	v_lshrrev_b32_e32 v20, 15, v20
	v_cndmask_b32_e64 v11, v11, v22, s[8:9]
	v_mul_u32_u24_e32 v22, 0xadc8, v20
	v_add_u32_e32 v18, -1, v8
	v_sub_u32_e32 v8, v8, v22
	v_mul_f32_e32 v21, 0x37800000, v11
	v_mul_lo_u32 v8, v8, s20
	v_cndmask_b32_e32 v11, v11, v21, vcc
	v_cmp_class_f32_e32 vcc, v9, v6
	v_cndmask_b32_e32 v9, v11, v9, vcc
	v_mul_u32_u24_e32 v20, 0xd47, v20
	v_cmp_nge_f32_e32 vcc, 1.0, v9
	v_xor_b32_e32 v21, 0x7fffffff, v20
	v_sub_u32_e32 v22, 0, v20
	v_cndmask_b32_e32 v7, v10, v7, vcc
	v_cmp_lt_u32_e32 vcc, v8, v20
	v_cndmask_b32_e32 v10, v22, v21, vcc
	v_add_u32_e32 v8, v10, v8
	v_add_u32_e32 v10, -1, v8
	v_cvt_f32_u32_e32 v10, v10
	v_cvt_f32_u32_e32 v18, v18
	v_add_f32_e32 v9, 1.0, v7
	v_fma_f32 v10, v10, s21, 0
	v_fma_f32 v18, v18, s21, 0
	v_mul_f32_e32 v10, v10, v10
	v_fmac_f32_e32 v10, v18, v18
	v_mul_f32_e32 v11, 0x4f800000, v10
	v_cmp_gt_f32_e32 vcc, s22, v10
	v_cndmask_b32_e32 v10, v10, v11, vcc
	v_sqrt_f32_e32 v11, v10
	v_add_u32_e32 v18, -1, v11
	v_add_u32_e32 v20, 1, v11
	v_fma_f32 v21, -v18, v11, v10
	v_fma_f32 v22, -v20, v11, v10
	v_cmp_ge_f32_e64 s[8:9], 0, v21
	v_cndmask_b32_e64 v11, v11, v18, s[8:9]
	v_cmp_lt_f32_e64 s[8:9], 0, v22
	v_cndmask_b32_e64 v11, v11, v20, s[8:9]
	v_mul_f32_e32 v18, 0x37800000, v11
	v_cndmask_b32_e32 v11, v11, v18, vcc
	v_cmp_class_f32_e32 vcc, v10, v6
	v_cndmask_b32_e32 v10, v11, v10, vcc
	v_cmp_nge_f32_e32 vcc, 1.0, v10
	v_cndmask_b32_e32 v7, v9, v7, vcc
	s_cbranch_scc1 .LBB31_711
; %bb.712:
	v_mul_f32_e32 v6, 4.0, v7
	s_mov_b32 s18, 0x459c4000
	v_div_scale_f32 v7, s[8:9], s18, s18, v6
	v_div_scale_f32 v8, vcc, v6, s18, v6
	v_rcp_f32_e32 v9, v7
	v_fma_f32 v10, -v7, v9, 1.0
	v_fmac_f32_e32 v9, v10, v9
	v_mul_f32_e32 v10, v8, v9
	v_fma_f32 v11, -v7, v10, v8
	v_fmac_f32_e32 v10, v11, v9
	v_fma_f32 v7, -v7, v10, v8
	v_div_fmas_f32 v7, v7, v9, v10
	v_div_fixup_f32 v18, v7, s18, v6
.LBB31_713:
	s_or_b64 exec, exec, s[10:11]
	v_add_u32_e32 v6, 0x300, v14
	v_cmp_lt_u32_e64 s[8:9], v6, v12
	s_and_saveexec_b64 s[18:19], s[8:9]
	s_cbranch_execz .LBB31_753
; %bb.714:
	v_add_u32_e32 v6, v15, v6
	s_movk_i32 s10, 0x1388
	v_mul_lo_u32 v6, v6, s10
	v_mov_b32_e32 v8, 1
	v_cmp_ne_u32_e32 vcc, 0, v6
	s_and_saveexec_b64 s[10:11], vcc
	s_cbranch_execz .LBB31_750
; %bb.715:
	v_mov_b32_e32 v7, 0
	v_mov_b32_e32 v10, 1
	;; [unrolled: 1-line block ×3, first 2 shown]
	s_mov_b64 s[22:23], 0xbc8f
	v_mov_b32_e32 v11, 0
	s_mov_b64 s[20:21], 0
	s_brev_b32 s26, -2
	v_mov_b32_e32 v8, v6
	s_branch .LBB31_717
.LBB31_716:                             ;   in Loop: Header=BB31_717 Depth=1
	s_or_b64 exec, exec, s[24:25]
	s_mul_i32 s23, s22, s23
	s_mul_hi_u32 s24, s22, s22
	s_add_i32 s24, s24, s23
	s_add_i32 s24, s24, s23
	s_mul_i32 s25, s22, s22
	s_mul_i32 s23, s24, 3
	s_mul_hi_u32 s27, s25, 3
	s_mul_hi_u32 s22, s24, 3
	s_add_u32 s23, s23, s27
	s_addc_u32 s22, s22, 0
	s_mul_i32 s28, s25, 0x80000001
	s_mul_hi_u32 s27, s25, 0x80000001
	s_add_u32 s23, s28, s23
	s_addc_u32 s23, s27, 0
	s_add_u32 s22, s22, s23
	s_addc_u32 s23, 0, 0
	s_mul_i32 s28, s24, 0x80000001
	s_mul_hi_u32 s27, s24, 0x80000001
	s_add_u32 s22, s28, s22
	s_addc_u32 s23, s27, s23
	s_lshr_b32 s27, s23, 30
	s_lshr_b64 s[22:23], s[22:23], 30
	s_mul_i32 s27, s27, 0x7fffffff
	s_mul_hi_u32 s23, s22, 0x7fffffff
	v_lshrrev_b64 v[19:20], 1, v[8:9]
	s_add_i32 s23, s23, s27
	s_mul_i32 s22, s22, 0x7fffffff
	s_sub_u32 s22, s25, s22
	v_cmp_gt_u64_e32 vcc, 2, v[8:9]
	s_subb_u32 s23, s24, s23
	v_mov_b32_e32 v8, v19
	s_or_b64 s[20:21], vcc, s[20:21]
	v_mov_b32_e32 v9, v20
	s_andn2_b64 exec, exec, s[20:21]
	s_cbranch_execz .LBB31_749
.LBB31_717:                             ; =>This Inner Loop Header: Depth=1
	v_and_b32_e32 v6, 1, v8
	v_cmp_eq_u32_e32 vcc, 1, v6
	s_and_saveexec_b64 s[24:25], vcc
	s_cbranch_execz .LBB31_716
; %bb.718:                              ;   in Loop: Header=BB31_717 Depth=1
	v_mad_u64_u32 v[19:20], s[28:29], s22, v10, 0
	v_mul_lo_u32 v10, s23, v10
	v_mul_lo_u32 v11, s22, v11
	v_mul_hi_u32 v6, v19, 5
	v_add3_u32 v15, v20, v11, v10
	v_mad_u64_u32 v[10:11], s[28:29], v15, 5, v[6:7]
	v_mov_b32_e32 v6, v10
	v_mad_u64_u32 v[20:21], s[28:29], v19, 2, v[6:7]
	v_add_co_u32_e32 v10, vcc, v11, v21
	v_addc_co_u32_e64 v11, s[28:29], 0, 0, vcc
	v_mad_u64_u32 v[10:11], s[28:29], v15, 2, v[10:11]
	v_sub_co_u32_e32 v20, vcc, v19, v10
	v_subb_co_u32_e32 v21, vcc, v15, v11, vcc
	v_lshrrev_b64 v[20:21], 1, v[20:21]
	v_add_co_u32_e32 v6, vcc, v20, v10
	v_addc_co_u32_e32 v20, vcc, v21, v11, vcc
	v_alignbit_b32 v6, v20, v6, 30
	v_mad_u64_u32 v[10:11], s[28:29], v6, s26, 0
	v_lshrrev_b32_e32 v20, 30, v20
	v_mov_b32_e32 v6, v11
	v_mad_u64_u32 v[20:21], s[28:29], v20, s26, v[6:7]
	v_sub_co_u32_e32 v10, vcc, v19, v10
	v_subb_co_u32_e32 v11, vcc, v15, v20, vcc
	s_branch .LBB31_716
.LBB31_719:
	s_or_b64 exec, exec, s[14:15]
	v_add_u32_e32 v6, 0x80000001, v10
	v_min_u32_e32 v6, v6, v10
	v_add_u32_e32 v7, 0x80000001, v6
	v_min_u32_e32 v8, v7, v6
.LBB31_720:
	s_or_b64 exec, exec, s[8:9]
	v_mov_b32_e32 v7, 0
	s_movk_i32 s14, 0x1388
	s_mov_b32 s15, 0xbc8f1391
	s_mov_b32 s16, 0xbc8f
	s_brev_b32 s17, 12
	s_mov_b32 s18, 0xf800000
	v_mov_b32_e32 v6, 0x260
.LBB31_721:                             ; =>This Inner Loop Header: Depth=1
	v_mul_hi_u32 v9, v8, s15
	v_add_f32_e32 v10, 1.0, v7
	s_add_i32 s14, s14, -2
	s_cmp_lg_u32 s14, 0
	v_lshrrev_b32_e32 v9, 15, v9
	v_mul_u32_u24_e32 v11, 0xadc8, v9
	v_sub_u32_e32 v8, v8, v11
	v_mul_lo_u32 v8, v8, s16
	v_mul_u32_u24_e32 v9, 0xd47, v9
	v_xor_b32_e32 v11, 0x7fffffff, v9
	v_sub_u32_e32 v18, 0, v9
	v_cmp_lt_u32_e32 vcc, v8, v9
	v_cndmask_b32_e32 v9, v18, v11, vcc
	v_add_u32_e32 v8, v9, v8
	v_mul_hi_u32 v11, v8, s15
	v_add_u32_e32 v9, -1, v8
	v_cvt_f32_u32_e32 v9, v9
	v_lshrrev_b32_e32 v11, 15, v11
	v_mul_u32_u24_e32 v18, 0xadc8, v11
	v_sub_u32_e32 v8, v8, v18
	v_mul_lo_u32 v8, v8, s16
	v_mul_u32_u24_e32 v11, 0xd47, v11
	v_xor_b32_e32 v18, 0x7fffffff, v11
	v_sub_u32_e32 v24, 0, v11
	v_cmp_lt_u32_e32 vcc, v8, v11
	v_cndmask_b32_e32 v11, v24, v18, vcc
	v_add_u32_e32 v8, v11, v8
	v_mul_hi_u32 v18, v8, s15
	v_add_u32_e32 v11, -1, v8
	v_cvt_f32_u32_e32 v11, v11
	v_fma_f32 v9, v9, s17, 0
	v_lshrrev_b32_e32 v18, 15, v18
	v_mul_u32_u24_e32 v24, 0xadc8, v18
	v_fma_f32 v11, v11, s17, 0
	v_sub_u32_e32 v8, v8, v24
	v_mul_f32_e32 v11, v11, v11
	v_mul_lo_u32 v8, v8, s16
	v_fmac_f32_e32 v11, v9, v9
	v_mul_f32_e32 v9, 0x4f800000, v11
	v_cmp_gt_f32_e32 vcc, s18, v11
	v_mul_u32_u24_e32 v18, 0xd47, v18
	v_cndmask_b32_e32 v9, v11, v9, vcc
	v_xor_b32_e32 v24, 0x7fffffff, v18
	v_sub_u32_e32 v25, 0, v18
	v_sqrt_f32_e32 v11, v9
	v_cmp_lt_u32_e64 s[8:9], v8, v18
	v_cndmask_b32_e64 v18, v25, v24, s[8:9]
	v_add_u32_e32 v8, v18, v8
	v_mul_hi_u32 v24, v8, s15
	v_add_u32_e32 v25, -1, v11
	v_add_u32_e32 v26, 1, v11
	v_fma_f32 v27, -v25, v11, v9
	v_fma_f32 v28, -v26, v11, v9
	v_cmp_ge_f32_e64 s[8:9], 0, v27
	v_cndmask_b32_e64 v11, v11, v25, s[8:9]
	v_cmp_lt_f32_e64 s[8:9], 0, v28
	v_lshrrev_b32_e32 v24, 15, v24
	v_cndmask_b32_e64 v11, v11, v26, s[8:9]
	v_mul_u32_u24_e32 v26, 0xadc8, v24
	v_add_u32_e32 v18, -1, v8
	v_sub_u32_e32 v8, v8, v26
	v_mul_f32_e32 v25, 0x37800000, v11
	v_mul_lo_u32 v8, v8, s16
	v_cndmask_b32_e32 v11, v11, v25, vcc
	v_cmp_class_f32_e32 vcc, v9, v6
	v_cndmask_b32_e32 v9, v11, v9, vcc
	v_mul_u32_u24_e32 v24, 0xd47, v24
	v_cmp_nge_f32_e32 vcc, 1.0, v9
	v_xor_b32_e32 v25, 0x7fffffff, v24
	v_sub_u32_e32 v26, 0, v24
	v_cndmask_b32_e32 v7, v10, v7, vcc
	v_cmp_lt_u32_e32 vcc, v8, v24
	v_cndmask_b32_e32 v10, v26, v25, vcc
	v_add_u32_e32 v8, v10, v8
	v_add_u32_e32 v10, -1, v8
	v_cvt_f32_u32_e32 v10, v10
	v_cvt_f32_u32_e32 v18, v18
	v_add_f32_e32 v9, 1.0, v7
	v_fma_f32 v10, v10, s17, 0
	v_fma_f32 v18, v18, s17, 0
	v_mul_f32_e32 v10, v10, v10
	v_fmac_f32_e32 v10, v18, v18
	v_mul_f32_e32 v11, 0x4f800000, v10
	v_cmp_gt_f32_e32 vcc, s18, v10
	v_cndmask_b32_e32 v10, v10, v11, vcc
	v_sqrt_f32_e32 v11, v10
	v_add_u32_e32 v18, -1, v11
	v_add_u32_e32 v24, 1, v11
	v_fma_f32 v25, -v18, v11, v10
	v_fma_f32 v26, -v24, v11, v10
	v_cmp_ge_f32_e64 s[8:9], 0, v25
	v_cndmask_b32_e64 v11, v11, v18, s[8:9]
	v_cmp_lt_f32_e64 s[8:9], 0, v26
	v_cndmask_b32_e64 v11, v11, v24, s[8:9]
	v_mul_f32_e32 v18, 0x37800000, v11
	v_cndmask_b32_e32 v11, v11, v18, vcc
	v_cmp_class_f32_e32 vcc, v10, v6
	v_cndmask_b32_e32 v10, v11, v10, vcc
	v_cmp_nge_f32_e32 vcc, 1.0, v10
	v_cndmask_b32_e32 v7, v9, v7, vcc
	s_cbranch_scc1 .LBB31_721
; %bb.722:
	v_mul_f32_e32 v6, 4.0, v7
	s_mov_b32 s14, 0x459c4000
	v_div_scale_f32 v7, s[8:9], s14, s14, v6
	v_div_scale_f32 v8, vcc, v6, s14, v6
	v_rcp_f32_e32 v9, v7
	v_fma_f32 v10, -v7, v9, 1.0
	v_fmac_f32_e32 v9, v10, v9
	v_mul_f32_e32 v10, v8, v9
	v_fma_f32 v11, -v7, v10, v8
	v_fmac_f32_e32 v10, v11, v9
	v_fma_f32 v7, -v7, v10, v8
	v_div_fmas_f32 v7, v7, v9, v10
	v_div_fixup_f32 v18, v7, s14, v6
.LBB31_723:
	s_or_b64 exec, exec, s[10:11]
	v_add_u32_e32 v6, 0x300, v14
	v_cmp_lt_u32_e64 s[8:9], v6, v12
	s_and_saveexec_b64 s[14:15], s[8:9]
	s_cbranch_execz .LBB31_762
; %bb.724:
	v_add_u32_e32 v6, v15, v6
	s_movk_i32 s10, 0x1388
	v_mul_lo_u32 v6, v6, s10
	v_mov_b32_e32 v8, 1
	v_cmp_ne_u32_e32 vcc, 0, v6
	s_and_saveexec_b64 s[10:11], vcc
	s_cbranch_execz .LBB31_759
; %bb.725:
	v_mov_b32_e32 v7, 0
	v_mov_b32_e32 v10, 1
	v_mov_b32_e32 v9, v7
	s_mov_b64 s[18:19], 0xbc8f
	v_mov_b32_e32 v11, 0
	s_mov_b64 s[16:17], 0
	s_brev_b32 s26, -2
	v_mov_b32_e32 v8, v6
	s_branch .LBB31_727
.LBB31_726:                             ;   in Loop: Header=BB31_727 Depth=1
	s_or_b64 exec, exec, s[20:21]
	s_mul_i32 s19, s18, s19
	s_mul_hi_u32 s20, s18, s18
	s_add_i32 s20, s20, s19
	s_add_i32 s20, s20, s19
	s_mul_i32 s21, s18, s18
	s_mul_i32 s19, s20, 3
	s_mul_hi_u32 s27, s21, 3
	s_mul_hi_u32 s18, s20, 3
	s_add_u32 s19, s19, s27
	s_addc_u32 s18, s18, 0
	s_mul_i32 s28, s21, 0x80000001
	s_mul_hi_u32 s27, s21, 0x80000001
	s_add_u32 s19, s28, s19
	s_addc_u32 s19, s27, 0
	s_add_u32 s18, s18, s19
	s_addc_u32 s19, 0, 0
	s_mul_i32 s28, s20, 0x80000001
	s_mul_hi_u32 s27, s20, 0x80000001
	s_add_u32 s18, s28, s18
	s_addc_u32 s19, s27, s19
	s_lshr_b32 s27, s19, 30
	s_lshr_b64 s[18:19], s[18:19], 30
	s_mul_i32 s27, s27, 0x7fffffff
	s_mul_hi_u32 s19, s18, 0x7fffffff
	v_lshrrev_b64 v[24:25], 1, v[8:9]
	s_add_i32 s19, s19, s27
	s_mul_i32 s18, s18, 0x7fffffff
	s_sub_u32 s18, s21, s18
	v_cmp_gt_u64_e32 vcc, 2, v[8:9]
	s_subb_u32 s19, s20, s19
	v_mov_b32_e32 v8, v24
	s_or_b64 s[16:17], vcc, s[16:17]
	v_mov_b32_e32 v9, v25
	s_andn2_b64 exec, exec, s[16:17]
	s_cbranch_execz .LBB31_758
.LBB31_727:                             ; =>This Inner Loop Header: Depth=1
	v_and_b32_e32 v6, 1, v8
	v_cmp_eq_u32_e32 vcc, 1, v6
	s_and_saveexec_b64 s[20:21], vcc
	s_cbranch_execz .LBB31_726
; %bb.728:                              ;   in Loop: Header=BB31_727 Depth=1
	v_mad_u64_u32 v[24:25], s[28:29], s18, v10, 0
	v_mul_lo_u32 v10, s19, v10
	v_mul_lo_u32 v11, s18, v11
	v_mul_hi_u32 v6, v24, 5
	v_add3_u32 v19, v25, v11, v10
	v_mad_u64_u32 v[10:11], s[28:29], v19, 5, v[6:7]
	v_mov_b32_e32 v6, v10
	v_mad_u64_u32 v[25:26], s[28:29], v24, 2, v[6:7]
	v_add_co_u32_e32 v10, vcc, v11, v26
	v_addc_co_u32_e64 v11, s[28:29], 0, 0, vcc
	v_mad_u64_u32 v[10:11], s[28:29], v19, 2, v[10:11]
	v_sub_co_u32_e32 v25, vcc, v24, v10
	v_subb_co_u32_e32 v26, vcc, v19, v11, vcc
	v_lshrrev_b64 v[25:26], 1, v[25:26]
	v_add_co_u32_e32 v6, vcc, v25, v10
	v_addc_co_u32_e32 v25, vcc, v26, v11, vcc
	v_alignbit_b32 v6, v25, v6, 30
	v_mad_u64_u32 v[10:11], s[28:29], v6, s26, 0
	v_lshrrev_b32_e32 v25, 30, v25
	v_mov_b32_e32 v6, v11
	v_mad_u64_u32 v[25:26], s[28:29], v25, s26, v[6:7]
	v_sub_co_u32_e32 v10, vcc, v24, v10
	v_subb_co_u32_e32 v11, vcc, v19, v25, vcc
	s_branch .LBB31_726
.LBB31_729:
	s_or_b64 exec, exec, s[14:15]
	v_add_u32_e32 v6, 0x80000001, v10
	v_min_u32_e32 v6, v6, v10
	v_add_u32_e32 v7, 0x80000001, v6
	v_min_u32_e32 v8, v7, v6
.LBB31_730:
	s_or_b64 exec, exec, s[8:9]
	v_mov_b32_e32 v7, 0
	s_movk_i32 s14, 0x1388
	s_mov_b32 s15, 0xbc8f1391
	s_mov_b32 s16, 0xbc8f
	s_brev_b32 s17, 12
	s_mov_b32 s18, 0xf800000
	v_mov_b32_e32 v6, 0x260
.LBB31_731:                             ; =>This Inner Loop Header: Depth=1
	v_mul_hi_u32 v9, v8, s15
	v_add_f32_e32 v10, 1.0, v7
	s_add_i32 s14, s14, -2
	s_cmp_lg_u32 s14, 0
	v_lshrrev_b32_e32 v9, 15, v9
	v_mul_u32_u24_e32 v11, 0xadc8, v9
	v_sub_u32_e32 v8, v8, v11
	v_mul_lo_u32 v8, v8, s16
	v_mul_u32_u24_e32 v9, 0xd47, v9
	v_xor_b32_e32 v11, 0x7fffffff, v9
	v_sub_u32_e32 v18, 0, v9
	v_cmp_lt_u32_e32 vcc, v8, v9
	v_cndmask_b32_e32 v9, v18, v11, vcc
	v_add_u32_e32 v8, v9, v8
	v_mul_hi_u32 v11, v8, s15
	v_add_u32_e32 v9, -1, v8
	v_cvt_f32_u32_e32 v9, v9
	v_lshrrev_b32_e32 v11, 15, v11
	v_mul_u32_u24_e32 v18, 0xadc8, v11
	v_sub_u32_e32 v8, v8, v18
	v_mul_lo_u32 v8, v8, s16
	v_mul_u32_u24_e32 v11, 0xd47, v11
	v_xor_b32_e32 v18, 0x7fffffff, v11
	v_sub_u32_e32 v33, 0, v11
	v_cmp_lt_u32_e32 vcc, v8, v11
	v_cndmask_b32_e32 v11, v33, v18, vcc
	v_add_u32_e32 v8, v11, v8
	v_mul_hi_u32 v18, v8, s15
	v_add_u32_e32 v11, -1, v8
	v_cvt_f32_u32_e32 v11, v11
	v_fma_f32 v9, v9, s17, 0
	v_lshrrev_b32_e32 v18, 15, v18
	v_mul_u32_u24_e32 v33, 0xadc8, v18
	v_fma_f32 v11, v11, s17, 0
	v_sub_u32_e32 v8, v8, v33
	v_mul_f32_e32 v11, v11, v11
	v_mul_lo_u32 v8, v8, s16
	v_fmac_f32_e32 v11, v9, v9
	v_mul_f32_e32 v9, 0x4f800000, v11
	v_cmp_gt_f32_e32 vcc, s18, v11
	v_mul_u32_u24_e32 v18, 0xd47, v18
	v_cndmask_b32_e32 v9, v11, v9, vcc
	v_xor_b32_e32 v33, 0x7fffffff, v18
	v_sub_u32_e32 v34, 0, v18
	v_sqrt_f32_e32 v11, v9
	v_cmp_lt_u32_e64 s[8:9], v8, v18
	v_cndmask_b32_e64 v18, v34, v33, s[8:9]
	v_add_u32_e32 v8, v18, v8
	v_mul_hi_u32 v33, v8, s15
	v_add_u32_e32 v34, -1, v11
	v_add_u32_e32 v35, 1, v11
	v_fma_f32 v36, -v34, v11, v9
	v_fma_f32 v37, -v35, v11, v9
	v_cmp_ge_f32_e64 s[8:9], 0, v36
	v_cndmask_b32_e64 v11, v11, v34, s[8:9]
	v_cmp_lt_f32_e64 s[8:9], 0, v37
	v_lshrrev_b32_e32 v33, 15, v33
	v_cndmask_b32_e64 v11, v11, v35, s[8:9]
	v_mul_u32_u24_e32 v35, 0xadc8, v33
	v_add_u32_e32 v18, -1, v8
	v_sub_u32_e32 v8, v8, v35
	v_mul_f32_e32 v34, 0x37800000, v11
	v_mul_lo_u32 v8, v8, s16
	v_cndmask_b32_e32 v11, v11, v34, vcc
	v_cmp_class_f32_e32 vcc, v9, v6
	v_cndmask_b32_e32 v9, v11, v9, vcc
	v_mul_u32_u24_e32 v33, 0xd47, v33
	v_cmp_nge_f32_e32 vcc, 1.0, v9
	v_xor_b32_e32 v34, 0x7fffffff, v33
	v_sub_u32_e32 v35, 0, v33
	v_cndmask_b32_e32 v7, v10, v7, vcc
	v_cmp_lt_u32_e32 vcc, v8, v33
	v_cndmask_b32_e32 v10, v35, v34, vcc
	v_add_u32_e32 v8, v10, v8
	v_add_u32_e32 v10, -1, v8
	v_cvt_f32_u32_e32 v10, v10
	v_cvt_f32_u32_e32 v18, v18
	v_add_f32_e32 v9, 1.0, v7
	v_fma_f32 v10, v10, s17, 0
	v_fma_f32 v18, v18, s17, 0
	v_mul_f32_e32 v10, v10, v10
	v_fmac_f32_e32 v10, v18, v18
	v_mul_f32_e32 v11, 0x4f800000, v10
	v_cmp_gt_f32_e32 vcc, s18, v10
	v_cndmask_b32_e32 v10, v10, v11, vcc
	v_sqrt_f32_e32 v11, v10
	v_add_u32_e32 v18, -1, v11
	v_add_u32_e32 v33, 1, v11
	v_fma_f32 v34, -v18, v11, v10
	v_fma_f32 v35, -v33, v11, v10
	v_cmp_ge_f32_e64 s[8:9], 0, v34
	v_cndmask_b32_e64 v11, v11, v18, s[8:9]
	v_cmp_lt_f32_e64 s[8:9], 0, v35
	v_cndmask_b32_e64 v11, v11, v33, s[8:9]
	v_mul_f32_e32 v18, 0x37800000, v11
	v_cndmask_b32_e32 v11, v11, v18, vcc
	v_cmp_class_f32_e32 vcc, v10, v6
	v_cndmask_b32_e32 v10, v11, v10, vcc
	v_cmp_nge_f32_e32 vcc, 1.0, v10
	v_cndmask_b32_e32 v7, v9, v7, vcc
	s_cbranch_scc1 .LBB31_731
; %bb.732:
	v_mul_f32_e32 v6, 4.0, v7
	s_mov_b32 s14, 0x459c4000
	v_div_scale_f32 v7, s[8:9], s14, s14, v6
	v_div_scale_f32 v8, vcc, v6, s14, v6
	v_rcp_f32_e32 v9, v7
	v_fma_f32 v10, -v7, v9, 1.0
	v_fmac_f32_e32 v9, v10, v9
	v_mul_f32_e32 v10, v8, v9
	v_fma_f32 v11, -v7, v10, v8
	v_fmac_f32_e32 v10, v11, v9
	v_fma_f32 v7, -v7, v10, v8
	v_div_fmas_f32 v7, v7, v9, v10
	v_div_fixup_f32 v18, v7, s14, v6
.LBB31_733:
	s_or_b64 exec, exec, s[10:11]
	v_add_u32_e32 v6, 0x300, v14
	v_cmp_lt_u32_e64 s[8:9], v6, v12
	s_and_saveexec_b64 s[14:15], s[8:9]
	s_cbranch_execz .LBB31_772
; %bb.734:
	v_add_u32_e32 v6, v15, v6
	s_movk_i32 s10, 0x1388
	v_mul_lo_u32 v6, v6, s10
	v_mov_b32_e32 v8, 1
	v_cmp_ne_u32_e32 vcc, 0, v6
	s_and_saveexec_b64 s[10:11], vcc
	s_cbranch_execz .LBB31_769
; %bb.735:
	v_mov_b32_e32 v7, 0
	v_mov_b32_e32 v10, 1
	;; [unrolled: 1-line block ×3, first 2 shown]
	s_mov_b64 s[18:19], 0xbc8f
	v_mov_b32_e32 v11, 0
	s_mov_b64 s[16:17], 0
	s_brev_b32 s22, -2
	v_mov_b32_e32 v8, v6
	s_branch .LBB31_737
.LBB31_736:                             ;   in Loop: Header=BB31_737 Depth=1
	s_or_b64 exec, exec, s[20:21]
	s_mul_i32 s19, s18, s19
	s_mul_hi_u32 s20, s18, s18
	s_add_i32 s20, s20, s19
	s_add_i32 s20, s20, s19
	s_mul_i32 s21, s18, s18
	s_mul_i32 s19, s20, 3
	s_mul_hi_u32 s23, s21, 3
	s_mul_hi_u32 s18, s20, 3
	s_add_u32 s19, s19, s23
	s_addc_u32 s18, s18, 0
	s_mul_i32 s24, s21, 0x80000001
	s_mul_hi_u32 s23, s21, 0x80000001
	s_add_u32 s19, s24, s19
	s_addc_u32 s19, s23, 0
	s_add_u32 s18, s18, s19
	s_addc_u32 s19, 0, 0
	s_mul_i32 s24, s20, 0x80000001
	s_mul_hi_u32 s23, s20, 0x80000001
	s_add_u32 s18, s24, s18
	s_addc_u32 s19, s23, s19
	s_lshr_b32 s23, s19, 30
	s_lshr_b64 s[18:19], s[18:19], 30
	s_mul_i32 s23, s23, 0x7fffffff
	s_mul_hi_u32 s19, s18, 0x7fffffff
	v_lshrrev_b64 v[33:34], 1, v[8:9]
	s_add_i32 s19, s19, s23
	s_mul_i32 s18, s18, 0x7fffffff
	s_sub_u32 s18, s21, s18
	v_cmp_gt_u64_e32 vcc, 2, v[8:9]
	s_subb_u32 s19, s20, s19
	v_mov_b32_e32 v8, v33
	s_or_b64 s[16:17], vcc, s[16:17]
	v_mov_b32_e32 v9, v34
	s_andn2_b64 exec, exec, s[16:17]
	s_cbranch_execz .LBB31_768
.LBB31_737:                             ; =>This Inner Loop Header: Depth=1
	v_and_b32_e32 v6, 1, v8
	v_cmp_eq_u32_e32 vcc, 1, v6
	s_and_saveexec_b64 s[20:21], vcc
	s_cbranch_execz .LBB31_736
; %bb.738:                              ;   in Loop: Header=BB31_737 Depth=1
	v_mad_u64_u32 v[33:34], s[24:25], s18, v10, 0
	v_mul_lo_u32 v10, s19, v10
	v_mul_lo_u32 v11, s18, v11
	v_mul_hi_u32 v6, v33, 5
	v_add3_u32 v19, v34, v11, v10
	v_mad_u64_u32 v[10:11], s[24:25], v19, 5, v[6:7]
	v_mov_b32_e32 v6, v10
	v_mad_u64_u32 v[34:35], s[24:25], v33, 2, v[6:7]
	v_add_co_u32_e32 v10, vcc, v11, v35
	v_addc_co_u32_e64 v11, s[24:25], 0, 0, vcc
	v_mad_u64_u32 v[10:11], s[24:25], v19, 2, v[10:11]
	v_sub_co_u32_e32 v34, vcc, v33, v10
	v_subb_co_u32_e32 v35, vcc, v19, v11, vcc
	v_lshrrev_b64 v[34:35], 1, v[34:35]
	v_add_co_u32_e32 v6, vcc, v34, v10
	v_addc_co_u32_e32 v34, vcc, v35, v11, vcc
	v_alignbit_b32 v6, v34, v6, 30
	v_mad_u64_u32 v[10:11], s[24:25], v6, s22, 0
	v_lshrrev_b32_e32 v34, 30, v34
	v_mov_b32_e32 v6, v11
	v_mad_u64_u32 v[34:35], s[24:25], v34, s22, v[6:7]
	v_sub_co_u32_e32 v10, vcc, v33, v10
	v_subb_co_u32_e32 v11, vcc, v19, v34, vcc
	s_branch .LBB31_736
.LBB31_739:
	s_or_b64 exec, exec, s[14:15]
	v_add_u32_e32 v4, 0x80000001, v8
	v_min_u32_e32 v4, v4, v8
	v_add_u32_e32 v5, 0x80000001, v4
	v_min_u32_e32 v6, v5, v4
.LBB31_740:
	s_or_b64 exec, exec, s[8:9]
	v_mov_b32_e32 v5, 0
	s_movk_i32 s14, 0x1388
	s_mov_b32 s15, 0xbc8f1391
	s_mov_b32 s16, 0xbc8f
	s_brev_b32 s17, 12
	s_mov_b32 s18, 0xf800000
	v_mov_b32_e32 v4, 0x260
.LBB31_741:                             ; =>This Inner Loop Header: Depth=1
	v_mul_hi_u32 v7, v6, s15
	v_add_f32_e32 v8, 1.0, v5
	s_add_i32 s14, s14, -2
	s_cmp_lg_u32 s14, 0
	v_lshrrev_b32_e32 v7, 15, v7
	v_mul_u32_u24_e32 v9, 0xadc8, v7
	v_sub_u32_e32 v6, v6, v9
	v_mul_lo_u32 v6, v6, s16
	v_mul_u32_u24_e32 v7, 0xd47, v7
	v_xor_b32_e32 v9, 0x7fffffff, v7
	v_sub_u32_e32 v16, 0, v7
	v_cmp_lt_u32_e32 vcc, v6, v7
	v_cndmask_b32_e32 v7, v16, v9, vcc
	v_add_u32_e32 v6, v7, v6
	v_mul_hi_u32 v9, v6, s15
	v_add_u32_e32 v7, -1, v6
	v_cvt_f32_u32_e32 v7, v7
	v_lshrrev_b32_e32 v9, 15, v9
	v_mul_u32_u24_e32 v16, 0xadc8, v9
	v_sub_u32_e32 v6, v6, v16
	v_mul_lo_u32 v6, v6, s16
	v_mul_u32_u24_e32 v9, 0xd47, v9
	v_xor_b32_e32 v16, 0x7fffffff, v9
	v_sub_u32_e32 v17, 0, v9
	v_cmp_lt_u32_e32 vcc, v6, v9
	v_cndmask_b32_e32 v9, v17, v16, vcc
	v_add_u32_e32 v6, v9, v6
	v_mul_hi_u32 v16, v6, s15
	v_add_u32_e32 v9, -1, v6
	v_cvt_f32_u32_e32 v9, v9
	v_fma_f32 v7, v7, s17, 0
	v_lshrrev_b32_e32 v16, 15, v16
	v_mul_u32_u24_e32 v17, 0xadc8, v16
	v_fma_f32 v9, v9, s17, 0
	v_sub_u32_e32 v6, v6, v17
	v_mul_f32_e32 v9, v9, v9
	v_mul_lo_u32 v6, v6, s16
	v_fmac_f32_e32 v9, v7, v7
	v_mul_f32_e32 v7, 0x4f800000, v9
	v_cmp_gt_f32_e32 vcc, s18, v9
	v_mul_u32_u24_e32 v16, 0xd47, v16
	v_cndmask_b32_e32 v7, v9, v7, vcc
	v_xor_b32_e32 v17, 0x7fffffff, v16
	v_sub_u32_e32 v18, 0, v16
	v_sqrt_f32_e32 v9, v7
	v_cmp_lt_u32_e64 s[8:9], v6, v16
	v_cndmask_b32_e64 v16, v18, v17, s[8:9]
	v_add_u32_e32 v6, v16, v6
	v_mul_hi_u32 v17, v6, s15
	v_add_u32_e32 v18, -1, v9
	v_add_u32_e32 v19, 1, v9
	v_fma_f32 v20, -v18, v9, v7
	v_fma_f32 v21, -v19, v9, v7
	v_cmp_ge_f32_e64 s[8:9], 0, v20
	v_cndmask_b32_e64 v9, v9, v18, s[8:9]
	v_cmp_lt_f32_e64 s[8:9], 0, v21
	v_lshrrev_b32_e32 v17, 15, v17
	v_cndmask_b32_e64 v9, v9, v19, s[8:9]
	v_mul_u32_u24_e32 v19, 0xadc8, v17
	v_add_u32_e32 v16, -1, v6
	v_sub_u32_e32 v6, v6, v19
	v_mul_f32_e32 v18, 0x37800000, v9
	v_mul_lo_u32 v6, v6, s16
	v_cndmask_b32_e32 v9, v9, v18, vcc
	v_cmp_class_f32_e32 vcc, v7, v4
	v_cndmask_b32_e32 v7, v9, v7, vcc
	v_mul_u32_u24_e32 v17, 0xd47, v17
	v_cmp_nge_f32_e32 vcc, 1.0, v7
	v_xor_b32_e32 v18, 0x7fffffff, v17
	v_sub_u32_e32 v19, 0, v17
	v_cndmask_b32_e32 v5, v8, v5, vcc
	v_cmp_lt_u32_e32 vcc, v6, v17
	v_cndmask_b32_e32 v8, v19, v18, vcc
	v_add_u32_e32 v6, v8, v6
	v_add_u32_e32 v8, -1, v6
	v_cvt_f32_u32_e32 v8, v8
	v_cvt_f32_u32_e32 v16, v16
	v_add_f32_e32 v7, 1.0, v5
	v_fma_f32 v8, v8, s17, 0
	v_fma_f32 v16, v16, s17, 0
	v_mul_f32_e32 v8, v8, v8
	v_fmac_f32_e32 v8, v16, v16
	v_mul_f32_e32 v9, 0x4f800000, v8
	v_cmp_gt_f32_e32 vcc, s18, v8
	v_cndmask_b32_e32 v8, v8, v9, vcc
	v_sqrt_f32_e32 v9, v8
	v_add_u32_e32 v16, -1, v9
	v_add_u32_e32 v17, 1, v9
	v_fma_f32 v18, -v16, v9, v8
	v_fma_f32 v19, -v17, v9, v8
	v_cmp_ge_f32_e64 s[8:9], 0, v18
	v_cndmask_b32_e64 v9, v9, v16, s[8:9]
	v_cmp_lt_f32_e64 s[8:9], 0, v19
	v_cndmask_b32_e64 v9, v9, v17, s[8:9]
	v_mul_f32_e32 v16, 0x37800000, v9
	v_cndmask_b32_e32 v9, v9, v16, vcc
	v_cmp_class_f32_e32 vcc, v8, v4
	v_cndmask_b32_e32 v8, v9, v8, vcc
	v_cmp_nge_f32_e32 vcc, 1.0, v8
	v_cndmask_b32_e32 v5, v7, v5, vcc
	s_cbranch_scc1 .LBB31_741
; %bb.742:
	v_mul_f32_e32 v4, 4.0, v5
	s_mov_b32 s14, 0x459c4000
	v_div_scale_f32 v5, s[8:9], s14, s14, v4
	v_div_scale_f32 v6, vcc, v4, s14, v4
	v_rcp_f32_e32 v7, v5
	v_fma_f32 v8, -v5, v7, 1.0
	v_fmac_f32_e32 v7, v8, v7
	v_mul_f32_e32 v8, v6, v7
	v_fma_f32 v9, -v5, v8, v6
	v_fmac_f32_e32 v8, v9, v7
	v_fma_f32 v5, -v5, v8, v6
	v_div_fmas_f32 v5, v5, v7, v8
	v_div_fixup_f32 v16, v5, s14, v4
.LBB31_743:
	s_or_b64 exec, exec, s[10:11]
	v_add_u32_e32 v4, 0x300, v12
	v_cmp_lt_u32_e64 s[8:9], v4, v10
                                        ; implicit-def: $vgpr17
	s_and_saveexec_b64 s[14:15], s[8:9]
	s_cbranch_execz .LBB31_782
; %bb.744:
	v_add_u32_e32 v4, v13, v4
	s_movk_i32 s10, 0x1388
	v_mul_lo_u32 v4, v4, s10
	v_mov_b32_e32 v6, 1
	v_cmp_ne_u32_e32 vcc, 0, v4
	s_and_saveexec_b64 s[10:11], vcc
	s_cbranch_execz .LBB31_779
; %bb.745:
	v_mov_b32_e32 v5, 0
	v_mov_b32_e32 v8, 1
	;; [unrolled: 1-line block ×3, first 2 shown]
	s_mov_b64 s[18:19], 0xbc8f
	v_mov_b32_e32 v9, 0
	s_mov_b64 s[16:17], 0
	s_brev_b32 s22, -2
	v_mov_b32_e32 v6, v4
	s_branch .LBB31_747
.LBB31_746:                             ;   in Loop: Header=BB31_747 Depth=1
	s_or_b64 exec, exec, s[20:21]
	s_mul_i32 s19, s18, s19
	s_mul_hi_u32 s20, s18, s18
	s_add_i32 s20, s20, s19
	s_add_i32 s20, s20, s19
	s_mul_i32 s21, s18, s18
	s_mul_i32 s19, s20, 3
	s_mul_hi_u32 s23, s21, 3
	s_mul_hi_u32 s18, s20, 3
	s_add_u32 s19, s19, s23
	s_addc_u32 s18, s18, 0
	s_mul_i32 s24, s21, 0x80000001
	s_mul_hi_u32 s23, s21, 0x80000001
	s_add_u32 s19, s24, s19
	s_addc_u32 s19, s23, 0
	s_add_u32 s18, s18, s19
	s_addc_u32 s19, 0, 0
	s_mul_i32 s24, s20, 0x80000001
	s_mul_hi_u32 s23, s20, 0x80000001
	s_add_u32 s18, s24, s18
	s_addc_u32 s19, s23, s19
	s_lshr_b32 s23, s19, 30
	s_lshr_b64 s[18:19], s[18:19], 30
	s_mul_i32 s23, s23, 0x7fffffff
	s_mul_hi_u32 s19, s18, 0x7fffffff
	v_lshrrev_b64 v[17:18], 1, v[6:7]
	s_add_i32 s19, s19, s23
	s_mul_i32 s18, s18, 0x7fffffff
	s_sub_u32 s18, s21, s18
	v_cmp_gt_u64_e32 vcc, 2, v[6:7]
	s_subb_u32 s19, s20, s19
	v_mov_b32_e32 v6, v17
	s_or_b64 s[16:17], vcc, s[16:17]
	v_mov_b32_e32 v7, v18
	s_andn2_b64 exec, exec, s[16:17]
	s_cbranch_execz .LBB31_778
.LBB31_747:                             ; =>This Inner Loop Header: Depth=1
	v_and_b32_e32 v4, 1, v6
	v_cmp_eq_u32_e32 vcc, 1, v4
	s_and_saveexec_b64 s[20:21], vcc
	s_cbranch_execz .LBB31_746
; %bb.748:                              ;   in Loop: Header=BB31_747 Depth=1
	v_mad_u64_u32 v[17:18], s[24:25], s18, v8, 0
	v_mul_lo_u32 v8, s19, v8
	v_mul_lo_u32 v9, s18, v9
	v_mul_hi_u32 v4, v17, 5
	v_add3_u32 v20, v18, v9, v8
	v_mad_u64_u32 v[8:9], s[24:25], v20, 5, v[4:5]
	v_mov_b32_e32 v4, v8
	v_mad_u64_u32 v[18:19], s[24:25], v17, 2, v[4:5]
	v_add_co_u32_e32 v8, vcc, v9, v19
	v_addc_co_u32_e64 v9, s[24:25], 0, 0, vcc
	v_mad_u64_u32 v[8:9], s[24:25], v20, 2, v[8:9]
	v_sub_co_u32_e32 v18, vcc, v17, v8
	v_subb_co_u32_e32 v19, vcc, v20, v9, vcc
	v_lshrrev_b64 v[18:19], 1, v[18:19]
	v_add_co_u32_e32 v4, vcc, v18, v8
	v_addc_co_u32_e32 v18, vcc, v19, v9, vcc
	v_alignbit_b32 v4, v18, v4, 30
	v_mad_u64_u32 v[8:9], s[24:25], v4, s22, 0
	v_lshrrev_b32_e32 v18, 30, v18
	v_mov_b32_e32 v4, v9
	v_mad_u64_u32 v[18:19], s[24:25], v18, s22, v[4:5]
	v_sub_co_u32_e32 v8, vcc, v17, v8
	v_subb_co_u32_e32 v9, vcc, v20, v18, vcc
	s_branch .LBB31_746
.LBB31_749:
	s_or_b64 exec, exec, s[20:21]
	v_add_u32_e32 v6, 0x80000001, v10
	v_min_u32_e32 v6, v6, v10
	v_add_u32_e32 v7, 0x80000001, v6
	v_min_u32_e32 v8, v7, v6
.LBB31_750:
	s_or_b64 exec, exec, s[10:11]
	v_mov_b32_e32 v7, 0
	s_movk_i32 s20, 0x1388
	s_mov_b32 s21, 0xbc8f1391
	s_mov_b32 s22, 0xbc8f
	s_brev_b32 s23, 12
	s_mov_b32 s24, 0xf800000
	v_mov_b32_e32 v6, 0x260
.LBB31_751:                             ; =>This Inner Loop Header: Depth=1
	v_mul_hi_u32 v9, v8, s21
	v_add_f32_e32 v10, 1.0, v7
	s_add_i32 s20, s20, -2
	s_cmp_lg_u32 s20, 0
	v_lshrrev_b32_e32 v9, 15, v9
	v_mul_u32_u24_e32 v11, 0xadc8, v9
	v_sub_u32_e32 v8, v8, v11
	v_mul_lo_u32 v8, v8, s22
	v_mul_u32_u24_e32 v9, 0xd47, v9
	v_xor_b32_e32 v11, 0x7fffffff, v9
	v_sub_u32_e32 v15, 0, v9
	v_cmp_lt_u32_e32 vcc, v8, v9
	v_cndmask_b32_e32 v9, v15, v11, vcc
	v_add_u32_e32 v8, v9, v8
	v_mul_hi_u32 v11, v8, s21
	v_add_u32_e32 v9, -1, v8
	v_cvt_f32_u32_e32 v9, v9
	v_lshrrev_b32_e32 v11, 15, v11
	v_mul_u32_u24_e32 v15, 0xadc8, v11
	v_sub_u32_e32 v8, v8, v15
	v_mul_lo_u32 v8, v8, s22
	v_mul_u32_u24_e32 v11, 0xd47, v11
	v_xor_b32_e32 v15, 0x7fffffff, v11
	v_sub_u32_e32 v19, 0, v11
	v_cmp_lt_u32_e32 vcc, v8, v11
	v_cndmask_b32_e32 v11, v19, v15, vcc
	v_add_u32_e32 v8, v11, v8
	v_mul_hi_u32 v15, v8, s21
	v_add_u32_e32 v11, -1, v8
	v_cvt_f32_u32_e32 v11, v11
	v_fma_f32 v9, v9, s23, 0
	v_lshrrev_b32_e32 v15, 15, v15
	v_mul_u32_u24_e32 v19, 0xadc8, v15
	v_fma_f32 v11, v11, s23, 0
	v_sub_u32_e32 v8, v8, v19
	v_mul_f32_e32 v11, v11, v11
	v_mul_lo_u32 v8, v8, s22
	v_fmac_f32_e32 v11, v9, v9
	v_mul_f32_e32 v9, 0x4f800000, v11
	v_cmp_gt_f32_e32 vcc, s24, v11
	v_mul_u32_u24_e32 v15, 0xd47, v15
	v_cndmask_b32_e32 v9, v11, v9, vcc
	v_xor_b32_e32 v19, 0x7fffffff, v15
	v_sub_u32_e32 v20, 0, v15
	v_sqrt_f32_e32 v11, v9
	v_cmp_lt_u32_e64 s[10:11], v8, v15
	v_cndmask_b32_e64 v15, v20, v19, s[10:11]
	v_add_u32_e32 v8, v15, v8
	v_mul_hi_u32 v19, v8, s21
	v_add_u32_e32 v20, -1, v11
	v_add_u32_e32 v21, 1, v11
	v_fma_f32 v22, -v20, v11, v9
	v_fma_f32 v23, -v21, v11, v9
	v_cmp_ge_f32_e64 s[10:11], 0, v22
	v_cndmask_b32_e64 v11, v11, v20, s[10:11]
	v_cmp_lt_f32_e64 s[10:11], 0, v23
	v_lshrrev_b32_e32 v19, 15, v19
	v_cndmask_b32_e64 v11, v11, v21, s[10:11]
	v_mul_u32_u24_e32 v21, 0xadc8, v19
	v_add_u32_e32 v15, -1, v8
	v_sub_u32_e32 v8, v8, v21
	v_mul_f32_e32 v20, 0x37800000, v11
	v_mul_lo_u32 v8, v8, s22
	v_cndmask_b32_e32 v11, v11, v20, vcc
	v_cmp_class_f32_e32 vcc, v9, v6
	v_cndmask_b32_e32 v9, v11, v9, vcc
	v_mul_u32_u24_e32 v19, 0xd47, v19
	v_cmp_nge_f32_e32 vcc, 1.0, v9
	v_xor_b32_e32 v20, 0x7fffffff, v19
	v_sub_u32_e32 v21, 0, v19
	v_cndmask_b32_e32 v7, v10, v7, vcc
	v_cmp_lt_u32_e32 vcc, v8, v19
	v_cndmask_b32_e32 v10, v21, v20, vcc
	v_add_u32_e32 v8, v10, v8
	v_add_u32_e32 v10, -1, v8
	v_cvt_f32_u32_e32 v10, v10
	v_cvt_f32_u32_e32 v15, v15
	v_add_f32_e32 v9, 1.0, v7
	v_fma_f32 v10, v10, s23, 0
	v_fma_f32 v15, v15, s23, 0
	v_mul_f32_e32 v10, v10, v10
	v_fmac_f32_e32 v10, v15, v15
	v_mul_f32_e32 v11, 0x4f800000, v10
	v_cmp_gt_f32_e32 vcc, s24, v10
	v_cndmask_b32_e32 v10, v10, v11, vcc
	v_sqrt_f32_e32 v11, v10
	v_add_u32_e32 v15, -1, v11
	v_add_u32_e32 v19, 1, v11
	v_fma_f32 v20, -v15, v11, v10
	v_fma_f32 v21, -v19, v11, v10
	v_cmp_ge_f32_e64 s[10:11], 0, v20
	v_cndmask_b32_e64 v11, v11, v15, s[10:11]
	v_cmp_lt_f32_e64 s[10:11], 0, v21
	v_cndmask_b32_e64 v11, v11, v19, s[10:11]
	v_mul_f32_e32 v15, 0x37800000, v11
	v_cndmask_b32_e32 v11, v11, v15, vcc
	v_cmp_class_f32_e32 vcc, v10, v6
	v_cndmask_b32_e32 v10, v11, v10, vcc
	v_cmp_nge_f32_e32 vcc, 1.0, v10
	v_cndmask_b32_e32 v7, v9, v7, vcc
	s_cbranch_scc1 .LBB31_751
; %bb.752:
	v_mul_f32_e32 v6, 4.0, v7
	s_mov_b32 s20, 0x459c4000
	v_div_scale_f32 v7, s[10:11], s20, s20, v6
	v_div_scale_f32 v8, vcc, v6, s20, v6
	v_rcp_f32_e32 v9, v7
	v_fma_f32 v10, -v7, v9, 1.0
	v_fmac_f32_e32 v9, v10, v9
	v_mul_f32_e32 v10, v8, v9
	v_fma_f32 v11, -v7, v10, v8
	v_fmac_f32_e32 v10, v11, v9
	v_fma_f32 v7, -v7, v10, v8
	v_div_fmas_f32 v7, v7, v9, v10
	v_div_fixup_f32 v19, v7, s20, v6
.LBB31_753:
	s_or_b64 exec, exec, s[18:19]
	v_add_f32_e32 v6, v16, v17
	v_cndmask_b32_e64 v6, v16, v6, s[4:5]
	v_add_f32_e32 v7, v18, v6
	v_cndmask_b32_e64 v6, v6, v7, s[6:7]
	;; [unrolled: 2-line block ×3, first 2 shown]
	v_mbcnt_lo_u32_b32 v6, -1, 0
	v_mbcnt_hi_u32_b32 v6, -1, v6
	v_and_b32_e32 v10, 63, v6
	v_cmp_ne_u32_e32 vcc, 63, v10
	v_addc_co_u32_e32 v8, vcc, 0, v6, vcc
	v_lshlrev_b32_e32 v8, 2, v8
	ds_bpermute_b32 v9, v8, v7
	v_min_u32_e32 v8, 0x100, v12
	v_and_b32_e32 v11, 0x3c0, v14
	v_sub_u32_e64 v11, v8, v11 clamp
	v_add_u32_e32 v12, 1, v10
	v_cmp_gt_u32_e64 s[4:5], 62, v10
	s_waitcnt lgkmcnt(0)
	v_add_f32_e32 v9, v7, v9
	v_cmp_lt_u32_e32 vcc, v12, v11
	v_cndmask_b32_e64 v12, 0, 2, s[4:5]
	v_cndmask_b32_e32 v9, v7, v9, vcc
	v_add_lshl_u32 v12, v12, v6, 2
	ds_bpermute_b32 v12, v12, v9
	v_add_u32_e32 v15, 2, v10
	v_cmp_lt_u32_e64 s[4:5], v15, v11
	v_add_u32_e32 v15, 4, v10
	s_waitcnt lgkmcnt(0)
	v_add_f32_e32 v12, v9, v12
	v_cndmask_b32_e64 v9, v9, v12, s[4:5]
	v_cmp_gt_u32_e64 s[4:5], 60, v10
	v_cndmask_b32_e64 v12, 0, 4, s[4:5]
	v_add_lshl_u32 v12, v12, v6, 2
	ds_bpermute_b32 v12, v12, v9
	v_cmp_lt_u32_e64 s[4:5], v15, v11
	v_add_u32_e32 v15, 8, v10
	s_waitcnt lgkmcnt(0)
	v_add_f32_e32 v12, v9, v12
	v_cndmask_b32_e64 v9, v9, v12, s[4:5]
	v_cmp_gt_u32_e64 s[4:5], 56, v10
	v_cndmask_b32_e64 v12, 0, 8, s[4:5]
	v_add_lshl_u32 v12, v12, v6, 2
	ds_bpermute_b32 v12, v12, v9
	;; [unrolled: 9-line block ×3, first 2 shown]
	v_cmp_lt_u32_e64 s[4:5], v15, v11
	v_add_u32_e32 v10, 32, v10
	s_waitcnt lgkmcnt(0)
	v_add_f32_e32 v12, v9, v12
	v_cndmask_b32_e64 v12, v9, v12, s[4:5]
	v_lshlrev_b32_e32 v9, 2, v6
	v_or_b32_e32 v15, 0x80, v9
	ds_bpermute_b32 v15, v15, v12
	v_cmp_lt_u32_e64 s[4:5], v10, v11
	s_waitcnt lgkmcnt(0)
	v_add_f32_e32 v15, v12, v15
	v_cndmask_b32_e64 v10, v12, v15, s[4:5]
	v_cndmask_b32_e32 v7, v7, v10, vcc
	v_cmp_eq_u32_e32 vcc, 0, v6
	s_and_saveexec_b64 s[4:5], vcc
; %bb.754:
	v_lshrrev_b32_e32 v10, 4, v14
	v_and_b32_e32 v10, 60, v10
	ds_write_b32 v10, v7 offset:96
; %bb.755:
	s_or_b64 exec, exec, s[4:5]
	v_cmp_gt_u32_e32 vcc, 4, v14
	s_waitcnt lgkmcnt(0)
	s_barrier
	s_and_saveexec_b64 s[6:7], vcc
	s_cbranch_execz .LBB31_757
; %bb.756:
	ds_read_b32 v7, v9 offset:96
	v_and_b32_e32 v10, 3, v6
	v_cmp_ne_u32_e32 vcc, 3, v10
	v_addc_co_u32_e32 v6, vcc, 0, v6, vcc
	v_lshlrev_b32_e32 v6, 2, v6
	s_waitcnt lgkmcnt(0)
	ds_bpermute_b32 v6, v6, v7
	v_add_u32_e32 v8, 63, v8
	v_lshrrev_b32_e32 v8, 6, v8
	v_add_u32_e32 v11, 1, v10
	v_cmp_lt_u32_e32 vcc, v11, v8
	s_waitcnt lgkmcnt(0)
	v_add_f32_e32 v6, v7, v6
	v_cndmask_b32_e32 v6, v7, v6, vcc
	v_or_b32_e32 v9, 8, v9
	ds_bpermute_b32 v9, v9, v6
	v_add_u32_e32 v10, 2, v10
	v_cmp_lt_u32_e64 s[4:5], v10, v8
	s_waitcnt lgkmcnt(0)
	v_add_f32_e32 v9, v6, v9
	v_cndmask_b32_e64 v6, v6, v9, s[4:5]
	v_cndmask_b32_e32 v7, v7, v6, vcc
.LBB31_757:
	s_or_b64 exec, exec, s[6:7]
	s_or_b64 exec, exec, s[16:17]
	v_cmp_eq_u32_e32 vcc, 0, v14
	s_and_b64 exec, exec, vcc
	s_cbranch_execnz .LBB31_14
	s_branch .LBB31_15
.LBB31_758:
	s_or_b64 exec, exec, s[16:17]
	v_add_u32_e32 v6, 0x80000001, v10
	v_min_u32_e32 v6, v6, v10
	v_add_u32_e32 v7, 0x80000001, v6
	v_min_u32_e32 v8, v7, v6
.LBB31_759:
	s_or_b64 exec, exec, s[10:11]
	v_mov_b32_e32 v7, 0
	s_movk_i32 s16, 0x1388
	s_mov_b32 s17, 0xbc8f1391
	s_mov_b32 s18, 0xbc8f
	s_brev_b32 s19, 12
	s_mov_b32 s20, 0xf800000
	v_mov_b32_e32 v6, 0x260
.LBB31_760:                             ; =>This Inner Loop Header: Depth=1
	v_mul_hi_u32 v9, v8, s17
	v_add_f32_e32 v10, 1.0, v7
	s_add_i32 s16, s16, -2
	s_cmp_lg_u32 s16, 0
	v_lshrrev_b32_e32 v9, 15, v9
	v_mul_u32_u24_e32 v11, 0xadc8, v9
	v_sub_u32_e32 v8, v8, v11
	v_mul_lo_u32 v8, v8, s18
	v_mul_u32_u24_e32 v9, 0xd47, v9
	v_xor_b32_e32 v11, 0x7fffffff, v9
	v_sub_u32_e32 v19, 0, v9
	v_cmp_lt_u32_e32 vcc, v8, v9
	v_cndmask_b32_e32 v9, v19, v11, vcc
	v_add_u32_e32 v8, v9, v8
	v_mul_hi_u32 v11, v8, s17
	v_add_u32_e32 v9, -1, v8
	v_cvt_f32_u32_e32 v9, v9
	v_lshrrev_b32_e32 v11, 15, v11
	v_mul_u32_u24_e32 v19, 0xadc8, v11
	v_sub_u32_e32 v8, v8, v19
	v_mul_lo_u32 v8, v8, s18
	v_mul_u32_u24_e32 v11, 0xd47, v11
	v_xor_b32_e32 v19, 0x7fffffff, v11
	v_sub_u32_e32 v24, 0, v11
	v_cmp_lt_u32_e32 vcc, v8, v11
	v_cndmask_b32_e32 v11, v24, v19, vcc
	v_add_u32_e32 v8, v11, v8
	v_mul_hi_u32 v19, v8, s17
	v_add_u32_e32 v11, -1, v8
	v_cvt_f32_u32_e32 v11, v11
	v_fma_f32 v9, v9, s19, 0
	v_lshrrev_b32_e32 v19, 15, v19
	v_mul_u32_u24_e32 v24, 0xadc8, v19
	v_fma_f32 v11, v11, s19, 0
	v_sub_u32_e32 v8, v8, v24
	v_mul_f32_e32 v11, v11, v11
	v_mul_lo_u32 v8, v8, s18
	v_fmac_f32_e32 v11, v9, v9
	v_mul_f32_e32 v9, 0x4f800000, v11
	v_cmp_gt_f32_e32 vcc, s20, v11
	v_mul_u32_u24_e32 v19, 0xd47, v19
	v_cndmask_b32_e32 v9, v11, v9, vcc
	v_xor_b32_e32 v24, 0x7fffffff, v19
	v_sub_u32_e32 v25, 0, v19
	v_sqrt_f32_e32 v11, v9
	v_cmp_lt_u32_e64 s[10:11], v8, v19
	v_cndmask_b32_e64 v19, v25, v24, s[10:11]
	v_add_u32_e32 v8, v19, v8
	v_mul_hi_u32 v24, v8, s17
	v_add_u32_e32 v25, -1, v11
	v_add_u32_e32 v26, 1, v11
	v_fma_f32 v27, -v25, v11, v9
	v_fma_f32 v28, -v26, v11, v9
	v_cmp_ge_f32_e64 s[10:11], 0, v27
	v_cndmask_b32_e64 v11, v11, v25, s[10:11]
	v_cmp_lt_f32_e64 s[10:11], 0, v28
	v_lshrrev_b32_e32 v24, 15, v24
	v_cndmask_b32_e64 v11, v11, v26, s[10:11]
	v_mul_u32_u24_e32 v26, 0xadc8, v24
	v_add_u32_e32 v19, -1, v8
	v_sub_u32_e32 v8, v8, v26
	v_mul_f32_e32 v25, 0x37800000, v11
	v_mul_lo_u32 v8, v8, s18
	v_cndmask_b32_e32 v11, v11, v25, vcc
	v_cmp_class_f32_e32 vcc, v9, v6
	v_cndmask_b32_e32 v9, v11, v9, vcc
	v_mul_u32_u24_e32 v24, 0xd47, v24
	v_cmp_nge_f32_e32 vcc, 1.0, v9
	v_xor_b32_e32 v25, 0x7fffffff, v24
	v_sub_u32_e32 v26, 0, v24
	v_cndmask_b32_e32 v7, v10, v7, vcc
	v_cmp_lt_u32_e32 vcc, v8, v24
	v_cndmask_b32_e32 v10, v26, v25, vcc
	v_add_u32_e32 v8, v10, v8
	v_add_u32_e32 v10, -1, v8
	v_cvt_f32_u32_e32 v10, v10
	v_cvt_f32_u32_e32 v19, v19
	v_add_f32_e32 v9, 1.0, v7
	v_fma_f32 v10, v10, s19, 0
	v_fma_f32 v19, v19, s19, 0
	v_mul_f32_e32 v10, v10, v10
	v_fmac_f32_e32 v10, v19, v19
	v_mul_f32_e32 v11, 0x4f800000, v10
	v_cmp_gt_f32_e32 vcc, s20, v10
	v_cndmask_b32_e32 v10, v10, v11, vcc
	v_sqrt_f32_e32 v11, v10
	v_add_u32_e32 v19, -1, v11
	v_add_u32_e32 v24, 1, v11
	v_fma_f32 v25, -v19, v11, v10
	v_fma_f32 v26, -v24, v11, v10
	v_cmp_ge_f32_e64 s[10:11], 0, v25
	v_cndmask_b32_e64 v11, v11, v19, s[10:11]
	v_cmp_lt_f32_e64 s[10:11], 0, v26
	v_cndmask_b32_e64 v11, v11, v24, s[10:11]
	v_mul_f32_e32 v19, 0x37800000, v11
	v_cndmask_b32_e32 v11, v11, v19, vcc
	v_cmp_class_f32_e32 vcc, v10, v6
	v_cndmask_b32_e32 v10, v11, v10, vcc
	v_cmp_nge_f32_e32 vcc, 1.0, v10
	v_cndmask_b32_e32 v7, v9, v7, vcc
	s_cbranch_scc1 .LBB31_760
; %bb.761:
	v_mul_f32_e32 v6, 4.0, v7
	s_mov_b32 s16, 0x459c4000
	v_div_scale_f32 v7, s[10:11], s16, s16, v6
	v_div_scale_f32 v8, vcc, v6, s16, v6
	v_rcp_f32_e32 v9, v7
	v_fma_f32 v10, -v7, v9, 1.0
	v_fmac_f32_e32 v9, v10, v9
	v_mul_f32_e32 v10, v8, v9
	v_fma_f32 v11, -v7, v10, v8
	v_fmac_f32_e32 v10, v11, v9
	v_fma_f32 v7, -v7, v10, v8
	v_div_fmas_f32 v7, v7, v9, v10
	v_div_fixup_f32 v19, v7, s16, v6
.LBB31_762:
	s_or_b64 exec, exec, s[14:15]
	v_or_b32_e32 v6, 0x400, v14
	v_cmp_lt_u32_e64 s[10:11], v6, v12
	s_and_saveexec_b64 s[16:17], s[10:11]
	s_cbranch_execz .LBB31_792
; %bb.763:
	v_add_u32_e32 v6, v15, v6
	s_movk_i32 s14, 0x1388
	v_mul_lo_u32 v6, v6, s14
	v_mov_b32_e32 v8, 1
	v_cmp_ne_u32_e32 vcc, 0, v6
	s_and_saveexec_b64 s[14:15], vcc
	s_cbranch_execz .LBB31_789
; %bb.764:
	v_mov_b32_e32 v7, 0
	v_mov_b32_e32 v10, 1
	;; [unrolled: 1-line block ×3, first 2 shown]
	s_mov_b64 s[20:21], 0xbc8f
	v_mov_b32_e32 v11, 0
	s_mov_b64 s[18:19], 0
	s_brev_b32 s28, -2
	v_mov_b32_e32 v8, v6
	s_branch .LBB31_766
.LBB31_765:                             ;   in Loop: Header=BB31_766 Depth=1
	s_or_b64 exec, exec, s[26:27]
	s_mul_i32 s21, s20, s21
	s_mul_hi_u32 s26, s20, s20
	s_add_i32 s26, s26, s21
	s_add_i32 s26, s26, s21
	s_mul_i32 s27, s20, s20
	s_mul_i32 s21, s26, 3
	s_mul_hi_u32 s29, s27, 3
	s_mul_hi_u32 s20, s26, 3
	s_add_u32 s21, s21, s29
	s_addc_u32 s20, s20, 0
	s_mul_i32 s40, s27, 0x80000001
	s_mul_hi_u32 s29, s27, 0x80000001
	s_add_u32 s21, s40, s21
	s_addc_u32 s21, s29, 0
	s_add_u32 s20, s20, s21
	s_addc_u32 s21, 0, 0
	s_mul_i32 s40, s26, 0x80000001
	s_mul_hi_u32 s29, s26, 0x80000001
	s_add_u32 s20, s40, s20
	s_addc_u32 s21, s29, s21
	s_lshr_b32 s29, s21, 30
	s_lshr_b64 s[20:21], s[20:21], 30
	s_mul_i32 s29, s29, 0x7fffffff
	s_mul_hi_u32 s21, s20, 0x7fffffff
	v_lshrrev_b64 v[24:25], 1, v[8:9]
	s_add_i32 s21, s21, s29
	s_mul_i32 s20, s20, 0x7fffffff
	s_sub_u32 s20, s27, s20
	v_cmp_gt_u64_e32 vcc, 2, v[8:9]
	s_subb_u32 s21, s26, s21
	v_mov_b32_e32 v8, v24
	s_or_b64 s[18:19], vcc, s[18:19]
	v_mov_b32_e32 v9, v25
	s_andn2_b64 exec, exec, s[18:19]
	s_cbranch_execz .LBB31_788
.LBB31_766:                             ; =>This Inner Loop Header: Depth=1
	v_and_b32_e32 v6, 1, v8
	v_cmp_eq_u32_e32 vcc, 1, v6
	s_and_saveexec_b64 s[26:27], vcc
	s_cbranch_execz .LBB31_765
; %bb.767:                              ;   in Loop: Header=BB31_766 Depth=1
	v_mad_u64_u32 v[24:25], s[40:41], s20, v10, 0
	v_mul_lo_u32 v10, s21, v10
	v_mul_lo_u32 v11, s20, v11
	v_mul_hi_u32 v6, v24, 5
	v_add3_u32 v20, v25, v11, v10
	v_mad_u64_u32 v[10:11], s[40:41], v20, 5, v[6:7]
	v_mov_b32_e32 v6, v10
	v_mad_u64_u32 v[25:26], s[40:41], v24, 2, v[6:7]
	v_add_co_u32_e32 v10, vcc, v11, v26
	v_addc_co_u32_e64 v11, s[40:41], 0, 0, vcc
	v_mad_u64_u32 v[10:11], s[40:41], v20, 2, v[10:11]
	v_sub_co_u32_e32 v25, vcc, v24, v10
	v_subb_co_u32_e32 v26, vcc, v20, v11, vcc
	v_lshrrev_b64 v[25:26], 1, v[25:26]
	v_add_co_u32_e32 v6, vcc, v25, v10
	v_addc_co_u32_e32 v25, vcc, v26, v11, vcc
	v_alignbit_b32 v6, v25, v6, 30
	v_mad_u64_u32 v[10:11], s[40:41], v6, s28, 0
	v_lshrrev_b32_e32 v25, 30, v25
	v_mov_b32_e32 v6, v11
	v_mad_u64_u32 v[25:26], s[40:41], v25, s28, v[6:7]
	v_sub_co_u32_e32 v10, vcc, v24, v10
	v_subb_co_u32_e32 v11, vcc, v20, v25, vcc
	s_branch .LBB31_765
.LBB31_768:
	s_or_b64 exec, exec, s[16:17]
	v_add_u32_e32 v6, 0x80000001, v10
	v_min_u32_e32 v6, v6, v10
	v_add_u32_e32 v7, 0x80000001, v6
	v_min_u32_e32 v8, v7, v6
.LBB31_769:
	s_or_b64 exec, exec, s[10:11]
	v_mov_b32_e32 v7, 0
	s_movk_i32 s16, 0x1388
	s_mov_b32 s17, 0xbc8f1391
	s_mov_b32 s18, 0xbc8f
	s_brev_b32 s19, 12
	s_mov_b32 s20, 0xf800000
	v_mov_b32_e32 v6, 0x260
.LBB31_770:                             ; =>This Inner Loop Header: Depth=1
	v_mul_hi_u32 v9, v8, s17
	v_add_f32_e32 v10, 1.0, v7
	s_add_i32 s16, s16, -2
	s_cmp_lg_u32 s16, 0
	v_lshrrev_b32_e32 v9, 15, v9
	v_mul_u32_u24_e32 v11, 0xadc8, v9
	v_sub_u32_e32 v8, v8, v11
	v_mul_lo_u32 v8, v8, s18
	v_mul_u32_u24_e32 v9, 0xd47, v9
	v_xor_b32_e32 v11, 0x7fffffff, v9
	v_sub_u32_e32 v19, 0, v9
	v_cmp_lt_u32_e32 vcc, v8, v9
	v_cndmask_b32_e32 v9, v19, v11, vcc
	v_add_u32_e32 v8, v9, v8
	v_mul_hi_u32 v11, v8, s17
	v_add_u32_e32 v9, -1, v8
	v_cvt_f32_u32_e32 v9, v9
	v_lshrrev_b32_e32 v11, 15, v11
	v_mul_u32_u24_e32 v19, 0xadc8, v11
	v_sub_u32_e32 v8, v8, v19
	v_mul_lo_u32 v8, v8, s18
	v_mul_u32_u24_e32 v11, 0xd47, v11
	v_xor_b32_e32 v19, 0x7fffffff, v11
	v_sub_u32_e32 v33, 0, v11
	v_cmp_lt_u32_e32 vcc, v8, v11
	v_cndmask_b32_e32 v11, v33, v19, vcc
	v_add_u32_e32 v8, v11, v8
	v_mul_hi_u32 v19, v8, s17
	v_add_u32_e32 v11, -1, v8
	v_cvt_f32_u32_e32 v11, v11
	v_fma_f32 v9, v9, s19, 0
	v_lshrrev_b32_e32 v19, 15, v19
	v_mul_u32_u24_e32 v33, 0xadc8, v19
	v_fma_f32 v11, v11, s19, 0
	v_sub_u32_e32 v8, v8, v33
	v_mul_f32_e32 v11, v11, v11
	v_mul_lo_u32 v8, v8, s18
	v_fmac_f32_e32 v11, v9, v9
	v_mul_f32_e32 v9, 0x4f800000, v11
	v_cmp_gt_f32_e32 vcc, s20, v11
	v_mul_u32_u24_e32 v19, 0xd47, v19
	v_cndmask_b32_e32 v9, v11, v9, vcc
	v_xor_b32_e32 v33, 0x7fffffff, v19
	v_sub_u32_e32 v34, 0, v19
	v_sqrt_f32_e32 v11, v9
	v_cmp_lt_u32_e64 s[10:11], v8, v19
	v_cndmask_b32_e64 v19, v34, v33, s[10:11]
	v_add_u32_e32 v8, v19, v8
	v_mul_hi_u32 v33, v8, s17
	v_add_u32_e32 v34, -1, v11
	v_add_u32_e32 v35, 1, v11
	v_fma_f32 v36, -v34, v11, v9
	v_fma_f32 v37, -v35, v11, v9
	v_cmp_ge_f32_e64 s[10:11], 0, v36
	v_cndmask_b32_e64 v11, v11, v34, s[10:11]
	v_cmp_lt_f32_e64 s[10:11], 0, v37
	v_lshrrev_b32_e32 v33, 15, v33
	v_cndmask_b32_e64 v11, v11, v35, s[10:11]
	v_mul_u32_u24_e32 v35, 0xadc8, v33
	v_add_u32_e32 v19, -1, v8
	v_sub_u32_e32 v8, v8, v35
	v_mul_f32_e32 v34, 0x37800000, v11
	v_mul_lo_u32 v8, v8, s18
	v_cndmask_b32_e32 v11, v11, v34, vcc
	v_cmp_class_f32_e32 vcc, v9, v6
	v_cndmask_b32_e32 v9, v11, v9, vcc
	v_mul_u32_u24_e32 v33, 0xd47, v33
	v_cmp_nge_f32_e32 vcc, 1.0, v9
	v_xor_b32_e32 v34, 0x7fffffff, v33
	v_sub_u32_e32 v35, 0, v33
	v_cndmask_b32_e32 v7, v10, v7, vcc
	v_cmp_lt_u32_e32 vcc, v8, v33
	v_cndmask_b32_e32 v10, v35, v34, vcc
	v_add_u32_e32 v8, v10, v8
	v_add_u32_e32 v10, -1, v8
	v_cvt_f32_u32_e32 v10, v10
	v_cvt_f32_u32_e32 v19, v19
	v_add_f32_e32 v9, 1.0, v7
	v_fma_f32 v10, v10, s19, 0
	v_fma_f32 v19, v19, s19, 0
	v_mul_f32_e32 v10, v10, v10
	v_fmac_f32_e32 v10, v19, v19
	v_mul_f32_e32 v11, 0x4f800000, v10
	v_cmp_gt_f32_e32 vcc, s20, v10
	v_cndmask_b32_e32 v10, v10, v11, vcc
	v_sqrt_f32_e32 v11, v10
	v_add_u32_e32 v19, -1, v11
	v_add_u32_e32 v33, 1, v11
	v_fma_f32 v34, -v19, v11, v10
	v_fma_f32 v35, -v33, v11, v10
	v_cmp_ge_f32_e64 s[10:11], 0, v34
	v_cndmask_b32_e64 v11, v11, v19, s[10:11]
	v_cmp_lt_f32_e64 s[10:11], 0, v35
	v_cndmask_b32_e64 v11, v11, v33, s[10:11]
	v_mul_f32_e32 v19, 0x37800000, v11
	v_cndmask_b32_e32 v11, v11, v19, vcc
	v_cmp_class_f32_e32 vcc, v10, v6
	v_cndmask_b32_e32 v10, v11, v10, vcc
	v_cmp_nge_f32_e32 vcc, 1.0, v10
	v_cndmask_b32_e32 v7, v9, v7, vcc
	s_cbranch_scc1 .LBB31_770
; %bb.771:
	v_mul_f32_e32 v6, 4.0, v7
	s_mov_b32 s16, 0x459c4000
	v_div_scale_f32 v7, s[10:11], s16, s16, v6
	v_div_scale_f32 v8, vcc, v6, s16, v6
	v_rcp_f32_e32 v9, v7
	v_fma_f32 v10, -v7, v9, 1.0
	v_fmac_f32_e32 v9, v10, v9
	v_mul_f32_e32 v10, v8, v9
	v_fma_f32 v11, -v7, v10, v8
	v_fmac_f32_e32 v10, v11, v9
	v_fma_f32 v7, -v7, v10, v8
	v_div_fmas_f32 v7, v7, v9, v10
	v_div_fixup_f32 v19, v7, s16, v6
.LBB31_772:
	s_or_b64 exec, exec, s[14:15]
	v_or_b32_e32 v6, 0x400, v14
	v_cmp_lt_u32_e64 s[10:11], v6, v12
	s_and_saveexec_b64 s[16:17], s[10:11]
	s_cbranch_execz .LBB31_802
; %bb.773:
	v_add_u32_e32 v6, v15, v6
	s_movk_i32 s14, 0x1388
	v_mul_lo_u32 v6, v6, s14
	v_mov_b32_e32 v8, 1
	v_cmp_ne_u32_e32 vcc, 0, v6
	s_and_saveexec_b64 s[14:15], vcc
	s_cbranch_execz .LBB31_799
; %bb.774:
	v_mov_b32_e32 v7, 0
	v_mov_b32_e32 v10, 1
	;; [unrolled: 1-line block ×3, first 2 shown]
	s_mov_b64 s[20:21], 0xbc8f
	v_mov_b32_e32 v11, 0
	s_mov_b64 s[18:19], 0
	s_brev_b32 s24, -2
	v_mov_b32_e32 v8, v6
	s_branch .LBB31_776
.LBB31_775:                             ;   in Loop: Header=BB31_776 Depth=1
	s_or_b64 exec, exec, s[22:23]
	s_mul_i32 s21, s20, s21
	s_mul_hi_u32 s22, s20, s20
	s_add_i32 s22, s22, s21
	s_add_i32 s22, s22, s21
	s_mul_i32 s23, s20, s20
	s_mul_i32 s21, s22, 3
	s_mul_hi_u32 s25, s23, 3
	s_mul_hi_u32 s20, s22, 3
	s_add_u32 s21, s21, s25
	s_addc_u32 s20, s20, 0
	s_mul_i32 s26, s23, 0x80000001
	s_mul_hi_u32 s25, s23, 0x80000001
	s_add_u32 s21, s26, s21
	s_addc_u32 s21, s25, 0
	s_add_u32 s20, s20, s21
	s_addc_u32 s21, 0, 0
	s_mul_i32 s26, s22, 0x80000001
	s_mul_hi_u32 s25, s22, 0x80000001
	s_add_u32 s20, s26, s20
	s_addc_u32 s21, s25, s21
	s_lshr_b32 s25, s21, 30
	s_lshr_b64 s[20:21], s[20:21], 30
	s_mul_i32 s25, s25, 0x7fffffff
	s_mul_hi_u32 s21, s20, 0x7fffffff
	v_lshrrev_b64 v[33:34], 1, v[8:9]
	s_add_i32 s21, s21, s25
	s_mul_i32 s20, s20, 0x7fffffff
	s_sub_u32 s20, s23, s20
	v_cmp_gt_u64_e32 vcc, 2, v[8:9]
	s_subb_u32 s21, s22, s21
	v_mov_b32_e32 v8, v33
	s_or_b64 s[18:19], vcc, s[18:19]
	v_mov_b32_e32 v9, v34
	s_andn2_b64 exec, exec, s[18:19]
	s_cbranch_execz .LBB31_798
.LBB31_776:                             ; =>This Inner Loop Header: Depth=1
	v_and_b32_e32 v6, 1, v8
	v_cmp_eq_u32_e32 vcc, 1, v6
	s_and_saveexec_b64 s[22:23], vcc
	s_cbranch_execz .LBB31_775
; %bb.777:                              ;   in Loop: Header=BB31_776 Depth=1
	v_mad_u64_u32 v[33:34], s[26:27], s20, v10, 0
	v_mul_lo_u32 v10, s21, v10
	v_mul_lo_u32 v11, s20, v11
	v_mul_hi_u32 v6, v33, 5
	v_add3_u32 v20, v34, v11, v10
	v_mad_u64_u32 v[10:11], s[26:27], v20, 5, v[6:7]
	v_mov_b32_e32 v6, v10
	v_mad_u64_u32 v[34:35], s[26:27], v33, 2, v[6:7]
	v_add_co_u32_e32 v10, vcc, v11, v35
	v_addc_co_u32_e64 v11, s[26:27], 0, 0, vcc
	v_mad_u64_u32 v[10:11], s[26:27], v20, 2, v[10:11]
	v_sub_co_u32_e32 v34, vcc, v33, v10
	v_subb_co_u32_e32 v35, vcc, v20, v11, vcc
	v_lshrrev_b64 v[34:35], 1, v[34:35]
	v_add_co_u32_e32 v6, vcc, v34, v10
	v_addc_co_u32_e32 v34, vcc, v35, v11, vcc
	v_alignbit_b32 v6, v34, v6, 30
	v_mad_u64_u32 v[10:11], s[26:27], v6, s24, 0
	v_lshrrev_b32_e32 v34, 30, v34
	v_mov_b32_e32 v6, v11
	v_mad_u64_u32 v[34:35], s[26:27], v34, s24, v[6:7]
	v_sub_co_u32_e32 v10, vcc, v33, v10
	v_subb_co_u32_e32 v11, vcc, v20, v34, vcc
	s_branch .LBB31_775
.LBB31_778:
	s_or_b64 exec, exec, s[16:17]
	v_add_u32_e32 v4, 0x80000001, v8
	v_min_u32_e32 v4, v4, v8
	v_add_u32_e32 v5, 0x80000001, v4
	v_min_u32_e32 v6, v5, v4
.LBB31_779:
	s_or_b64 exec, exec, s[10:11]
	v_mov_b32_e32 v5, 0
	s_movk_i32 s16, 0x1388
	s_mov_b32 s17, 0xbc8f1391
	s_mov_b32 s18, 0xbc8f
	s_brev_b32 s19, 12
	s_mov_b32 s20, 0xf800000
	v_mov_b32_e32 v4, 0x260
.LBB31_780:                             ; =>This Inner Loop Header: Depth=1
	v_mul_hi_u32 v7, v6, s17
	v_add_f32_e32 v8, 1.0, v5
	s_add_i32 s16, s16, -2
	s_cmp_lg_u32 s16, 0
	v_lshrrev_b32_e32 v7, 15, v7
	v_mul_u32_u24_e32 v9, 0xadc8, v7
	v_sub_u32_e32 v6, v6, v9
	v_mul_lo_u32 v6, v6, s18
	v_mul_u32_u24_e32 v7, 0xd47, v7
	v_xor_b32_e32 v9, 0x7fffffff, v7
	v_sub_u32_e32 v17, 0, v7
	v_cmp_lt_u32_e32 vcc, v6, v7
	v_cndmask_b32_e32 v7, v17, v9, vcc
	v_add_u32_e32 v6, v7, v6
	v_mul_hi_u32 v9, v6, s17
	v_add_u32_e32 v7, -1, v6
	v_cvt_f32_u32_e32 v7, v7
	v_lshrrev_b32_e32 v9, 15, v9
	v_mul_u32_u24_e32 v17, 0xadc8, v9
	v_sub_u32_e32 v6, v6, v17
	v_mul_lo_u32 v6, v6, s18
	v_mul_u32_u24_e32 v9, 0xd47, v9
	v_xor_b32_e32 v17, 0x7fffffff, v9
	v_sub_u32_e32 v18, 0, v9
	v_cmp_lt_u32_e32 vcc, v6, v9
	v_cndmask_b32_e32 v9, v18, v17, vcc
	v_add_u32_e32 v6, v9, v6
	v_mul_hi_u32 v17, v6, s17
	v_add_u32_e32 v9, -1, v6
	v_cvt_f32_u32_e32 v9, v9
	v_fma_f32 v7, v7, s19, 0
	v_lshrrev_b32_e32 v17, 15, v17
	v_mul_u32_u24_e32 v18, 0xadc8, v17
	v_fma_f32 v9, v9, s19, 0
	v_sub_u32_e32 v6, v6, v18
	v_mul_f32_e32 v9, v9, v9
	v_mul_lo_u32 v6, v6, s18
	v_fmac_f32_e32 v9, v7, v7
	v_mul_f32_e32 v7, 0x4f800000, v9
	v_cmp_gt_f32_e32 vcc, s20, v9
	v_mul_u32_u24_e32 v17, 0xd47, v17
	v_cndmask_b32_e32 v7, v9, v7, vcc
	v_xor_b32_e32 v18, 0x7fffffff, v17
	v_sub_u32_e32 v19, 0, v17
	v_sqrt_f32_e32 v9, v7
	v_cmp_lt_u32_e64 s[10:11], v6, v17
	v_cndmask_b32_e64 v17, v19, v18, s[10:11]
	v_add_u32_e32 v6, v17, v6
	v_mul_hi_u32 v18, v6, s17
	v_add_u32_e32 v19, -1, v9
	v_add_u32_e32 v20, 1, v9
	v_fma_f32 v21, -v19, v9, v7
	v_fma_f32 v22, -v20, v9, v7
	v_cmp_ge_f32_e64 s[10:11], 0, v21
	v_cndmask_b32_e64 v9, v9, v19, s[10:11]
	v_cmp_lt_f32_e64 s[10:11], 0, v22
	v_lshrrev_b32_e32 v18, 15, v18
	v_cndmask_b32_e64 v9, v9, v20, s[10:11]
	v_mul_u32_u24_e32 v20, 0xadc8, v18
	v_add_u32_e32 v17, -1, v6
	v_sub_u32_e32 v6, v6, v20
	v_mul_f32_e32 v19, 0x37800000, v9
	v_mul_lo_u32 v6, v6, s18
	v_cndmask_b32_e32 v9, v9, v19, vcc
	v_cmp_class_f32_e32 vcc, v7, v4
	v_cndmask_b32_e32 v7, v9, v7, vcc
	v_mul_u32_u24_e32 v18, 0xd47, v18
	v_cmp_nge_f32_e32 vcc, 1.0, v7
	v_xor_b32_e32 v19, 0x7fffffff, v18
	v_sub_u32_e32 v20, 0, v18
	v_cndmask_b32_e32 v5, v8, v5, vcc
	v_cmp_lt_u32_e32 vcc, v6, v18
	v_cndmask_b32_e32 v8, v20, v19, vcc
	v_add_u32_e32 v6, v8, v6
	v_add_u32_e32 v8, -1, v6
	v_cvt_f32_u32_e32 v8, v8
	v_cvt_f32_u32_e32 v17, v17
	v_add_f32_e32 v7, 1.0, v5
	v_fma_f32 v8, v8, s19, 0
	v_fma_f32 v17, v17, s19, 0
	v_mul_f32_e32 v8, v8, v8
	v_fmac_f32_e32 v8, v17, v17
	v_mul_f32_e32 v9, 0x4f800000, v8
	v_cmp_gt_f32_e32 vcc, s20, v8
	v_cndmask_b32_e32 v8, v8, v9, vcc
	v_sqrt_f32_e32 v9, v8
	v_add_u32_e32 v17, -1, v9
	v_add_u32_e32 v18, 1, v9
	v_fma_f32 v19, -v17, v9, v8
	v_fma_f32 v20, -v18, v9, v8
	v_cmp_ge_f32_e64 s[10:11], 0, v19
	v_cndmask_b32_e64 v9, v9, v17, s[10:11]
	v_cmp_lt_f32_e64 s[10:11], 0, v20
	v_cndmask_b32_e64 v9, v9, v18, s[10:11]
	v_mul_f32_e32 v17, 0x37800000, v9
	v_cndmask_b32_e32 v9, v9, v17, vcc
	v_cmp_class_f32_e32 vcc, v8, v4
	v_cndmask_b32_e32 v8, v9, v8, vcc
	v_cmp_nge_f32_e32 vcc, 1.0, v8
	v_cndmask_b32_e32 v5, v7, v5, vcc
	s_cbranch_scc1 .LBB31_780
; %bb.781:
	v_mul_f32_e32 v4, 4.0, v5
	s_mov_b32 s16, 0x459c4000
	v_div_scale_f32 v5, s[10:11], s16, s16, v4
	v_div_scale_f32 v6, vcc, v4, s16, v4
	v_rcp_f32_e32 v7, v5
	v_fma_f32 v8, -v5, v7, 1.0
	v_fmac_f32_e32 v7, v8, v7
	v_mul_f32_e32 v8, v6, v7
	v_fma_f32 v9, -v5, v8, v6
	v_fmac_f32_e32 v8, v9, v7
	v_fma_f32 v5, -v5, v8, v6
	v_div_fmas_f32 v5, v5, v7, v8
	v_div_fixup_f32 v17, v5, s16, v4
.LBB31_782:
	s_or_b64 exec, exec, s[14:15]
	v_or_b32_e32 v4, 0x400, v12
	v_cmp_lt_u32_e64 s[10:11], v4, v10
                                        ; implicit-def: $vgpr18
	s_and_saveexec_b64 s[16:17], s[10:11]
	s_cbranch_execz .LBB31_812
; %bb.783:
	v_add_u32_e32 v4, v13, v4
	s_movk_i32 s14, 0x1388
	v_mul_lo_u32 v4, v4, s14
	v_mov_b32_e32 v6, 1
	v_cmp_ne_u32_e32 vcc, 0, v4
	s_and_saveexec_b64 s[14:15], vcc
	s_cbranch_execz .LBB31_809
; %bb.784:
	v_mov_b32_e32 v5, 0
	v_mov_b32_e32 v8, 1
	;; [unrolled: 1-line block ×3, first 2 shown]
	s_mov_b64 s[20:21], 0xbc8f
	v_mov_b32_e32 v9, 0
	s_mov_b64 s[18:19], 0
	s_brev_b32 s24, -2
	v_mov_b32_e32 v6, v4
	s_branch .LBB31_786
.LBB31_785:                             ;   in Loop: Header=BB31_786 Depth=1
	s_or_b64 exec, exec, s[22:23]
	s_mul_i32 s21, s20, s21
	s_mul_hi_u32 s22, s20, s20
	s_add_i32 s22, s22, s21
	s_add_i32 s22, s22, s21
	s_mul_i32 s23, s20, s20
	s_mul_i32 s21, s22, 3
	s_mul_hi_u32 s25, s23, 3
	s_mul_hi_u32 s20, s22, 3
	s_add_u32 s21, s21, s25
	s_addc_u32 s20, s20, 0
	s_mul_i32 s26, s23, 0x80000001
	s_mul_hi_u32 s25, s23, 0x80000001
	s_add_u32 s21, s26, s21
	s_addc_u32 s21, s25, 0
	s_add_u32 s20, s20, s21
	s_addc_u32 s21, 0, 0
	s_mul_i32 s26, s22, 0x80000001
	s_mul_hi_u32 s25, s22, 0x80000001
	s_add_u32 s20, s26, s20
	s_addc_u32 s21, s25, s21
	s_lshr_b32 s25, s21, 30
	s_lshr_b64 s[20:21], s[20:21], 30
	s_mul_i32 s25, s25, 0x7fffffff
	s_mul_hi_u32 s21, s20, 0x7fffffff
	v_lshrrev_b64 v[18:19], 1, v[6:7]
	s_add_i32 s21, s21, s25
	s_mul_i32 s20, s20, 0x7fffffff
	s_sub_u32 s20, s23, s20
	v_cmp_gt_u64_e32 vcc, 2, v[6:7]
	s_subb_u32 s21, s22, s21
	v_mov_b32_e32 v6, v18
	s_or_b64 s[18:19], vcc, s[18:19]
	v_mov_b32_e32 v7, v19
	s_andn2_b64 exec, exec, s[18:19]
	s_cbranch_execz .LBB31_808
.LBB31_786:                             ; =>This Inner Loop Header: Depth=1
	v_and_b32_e32 v4, 1, v6
	v_cmp_eq_u32_e32 vcc, 1, v4
	s_and_saveexec_b64 s[22:23], vcc
	s_cbranch_execz .LBB31_785
; %bb.787:                              ;   in Loop: Header=BB31_786 Depth=1
	v_mad_u64_u32 v[18:19], s[26:27], s20, v8, 0
	v_mul_lo_u32 v8, s21, v8
	v_mul_lo_u32 v9, s20, v9
	v_mul_hi_u32 v4, v18, 5
	v_add3_u32 v21, v19, v9, v8
	v_mad_u64_u32 v[8:9], s[26:27], v21, 5, v[4:5]
	v_mov_b32_e32 v4, v8
	v_mad_u64_u32 v[19:20], s[26:27], v18, 2, v[4:5]
	v_add_co_u32_e32 v8, vcc, v9, v20
	v_addc_co_u32_e64 v9, s[26:27], 0, 0, vcc
	v_mad_u64_u32 v[8:9], s[26:27], v21, 2, v[8:9]
	v_sub_co_u32_e32 v19, vcc, v18, v8
	v_subb_co_u32_e32 v20, vcc, v21, v9, vcc
	v_lshrrev_b64 v[19:20], 1, v[19:20]
	v_add_co_u32_e32 v4, vcc, v19, v8
	v_addc_co_u32_e32 v19, vcc, v20, v9, vcc
	v_alignbit_b32 v4, v19, v4, 30
	v_mad_u64_u32 v[8:9], s[26:27], v4, s24, 0
	v_lshrrev_b32_e32 v19, 30, v19
	v_mov_b32_e32 v4, v9
	v_mad_u64_u32 v[19:20], s[26:27], v19, s24, v[4:5]
	v_sub_co_u32_e32 v8, vcc, v18, v8
	v_subb_co_u32_e32 v9, vcc, v21, v19, vcc
	s_branch .LBB31_785
.LBB31_788:
	s_or_b64 exec, exec, s[18:19]
	v_add_u32_e32 v6, 0x80000001, v10
	v_min_u32_e32 v6, v6, v10
	v_add_u32_e32 v7, 0x80000001, v6
	v_min_u32_e32 v8, v7, v6
.LBB31_789:
	s_or_b64 exec, exec, s[14:15]
	v_mov_b32_e32 v7, 0
	s_movk_i32 s18, 0x1388
	s_mov_b32 s19, 0xbc8f1391
	s_mov_b32 s20, 0xbc8f
	s_brev_b32 s21, 12
	s_mov_b32 s26, 0xf800000
	v_mov_b32_e32 v6, 0x260
.LBB31_790:                             ; =>This Inner Loop Header: Depth=1
	v_mul_hi_u32 v9, v8, s19
	v_add_f32_e32 v10, 1.0, v7
	s_add_i32 s18, s18, -2
	s_cmp_lg_u32 s18, 0
	v_lshrrev_b32_e32 v9, 15, v9
	v_mul_u32_u24_e32 v11, 0xadc8, v9
	v_sub_u32_e32 v8, v8, v11
	v_mul_lo_u32 v8, v8, s20
	v_mul_u32_u24_e32 v9, 0xd47, v9
	v_xor_b32_e32 v11, 0x7fffffff, v9
	v_sub_u32_e32 v20, 0, v9
	v_cmp_lt_u32_e32 vcc, v8, v9
	v_cndmask_b32_e32 v9, v20, v11, vcc
	v_add_u32_e32 v8, v9, v8
	v_mul_hi_u32 v11, v8, s19
	v_add_u32_e32 v9, -1, v8
	v_cvt_f32_u32_e32 v9, v9
	v_lshrrev_b32_e32 v11, 15, v11
	v_mul_u32_u24_e32 v20, 0xadc8, v11
	v_sub_u32_e32 v8, v8, v20
	v_mul_lo_u32 v8, v8, s20
	v_mul_u32_u24_e32 v11, 0xd47, v11
	v_xor_b32_e32 v20, 0x7fffffff, v11
	v_sub_u32_e32 v24, 0, v11
	v_cmp_lt_u32_e32 vcc, v8, v11
	v_cndmask_b32_e32 v11, v24, v20, vcc
	v_add_u32_e32 v8, v11, v8
	v_mul_hi_u32 v20, v8, s19
	v_add_u32_e32 v11, -1, v8
	v_cvt_f32_u32_e32 v11, v11
	v_fma_f32 v9, v9, s21, 0
	v_lshrrev_b32_e32 v20, 15, v20
	v_mul_u32_u24_e32 v24, 0xadc8, v20
	v_fma_f32 v11, v11, s21, 0
	v_sub_u32_e32 v8, v8, v24
	v_mul_f32_e32 v11, v11, v11
	v_mul_lo_u32 v8, v8, s20
	v_fmac_f32_e32 v11, v9, v9
	v_mul_f32_e32 v9, 0x4f800000, v11
	v_cmp_gt_f32_e32 vcc, s26, v11
	v_mul_u32_u24_e32 v20, 0xd47, v20
	v_cndmask_b32_e32 v9, v11, v9, vcc
	v_xor_b32_e32 v24, 0x7fffffff, v20
	v_sub_u32_e32 v25, 0, v20
	v_sqrt_f32_e32 v11, v9
	v_cmp_lt_u32_e64 s[14:15], v8, v20
	v_cndmask_b32_e64 v20, v25, v24, s[14:15]
	v_add_u32_e32 v8, v20, v8
	v_mul_hi_u32 v24, v8, s19
	v_add_u32_e32 v25, -1, v11
	v_add_u32_e32 v26, 1, v11
	v_fma_f32 v27, -v25, v11, v9
	v_fma_f32 v28, -v26, v11, v9
	v_cmp_ge_f32_e64 s[14:15], 0, v27
	v_cndmask_b32_e64 v11, v11, v25, s[14:15]
	v_cmp_lt_f32_e64 s[14:15], 0, v28
	v_lshrrev_b32_e32 v24, 15, v24
	v_cndmask_b32_e64 v11, v11, v26, s[14:15]
	v_mul_u32_u24_e32 v26, 0xadc8, v24
	v_add_u32_e32 v20, -1, v8
	v_sub_u32_e32 v8, v8, v26
	v_mul_f32_e32 v25, 0x37800000, v11
	v_mul_lo_u32 v8, v8, s20
	v_cndmask_b32_e32 v11, v11, v25, vcc
	v_cmp_class_f32_e32 vcc, v9, v6
	v_cndmask_b32_e32 v9, v11, v9, vcc
	v_mul_u32_u24_e32 v24, 0xd47, v24
	v_cmp_nge_f32_e32 vcc, 1.0, v9
	v_xor_b32_e32 v25, 0x7fffffff, v24
	v_sub_u32_e32 v26, 0, v24
	v_cndmask_b32_e32 v7, v10, v7, vcc
	v_cmp_lt_u32_e32 vcc, v8, v24
	v_cndmask_b32_e32 v10, v26, v25, vcc
	v_add_u32_e32 v8, v10, v8
	v_add_u32_e32 v10, -1, v8
	v_cvt_f32_u32_e32 v10, v10
	v_cvt_f32_u32_e32 v20, v20
	v_add_f32_e32 v9, 1.0, v7
	v_fma_f32 v10, v10, s21, 0
	v_fma_f32 v20, v20, s21, 0
	v_mul_f32_e32 v10, v10, v10
	v_fmac_f32_e32 v10, v20, v20
	v_mul_f32_e32 v11, 0x4f800000, v10
	v_cmp_gt_f32_e32 vcc, s26, v10
	v_cndmask_b32_e32 v10, v10, v11, vcc
	v_sqrt_f32_e32 v11, v10
	v_add_u32_e32 v20, -1, v11
	v_add_u32_e32 v24, 1, v11
	v_fma_f32 v25, -v20, v11, v10
	v_fma_f32 v26, -v24, v11, v10
	v_cmp_ge_f32_e64 s[14:15], 0, v25
	v_cndmask_b32_e64 v11, v11, v20, s[14:15]
	v_cmp_lt_f32_e64 s[14:15], 0, v26
	v_cndmask_b32_e64 v11, v11, v24, s[14:15]
	v_mul_f32_e32 v20, 0x37800000, v11
	v_cndmask_b32_e32 v11, v11, v20, vcc
	v_cmp_class_f32_e32 vcc, v10, v6
	v_cndmask_b32_e32 v10, v11, v10, vcc
	v_cmp_nge_f32_e32 vcc, 1.0, v10
	v_cndmask_b32_e32 v7, v9, v7, vcc
	s_cbranch_scc1 .LBB31_790
; %bb.791:
	v_mul_f32_e32 v6, 4.0, v7
	s_mov_b32 s18, 0x459c4000
	v_div_scale_f32 v7, s[14:15], s18, s18, v6
	v_div_scale_f32 v8, vcc, v6, s18, v6
	v_rcp_f32_e32 v9, v7
	v_fma_f32 v10, -v7, v9, 1.0
	v_fmac_f32_e32 v9, v10, v9
	v_mul_f32_e32 v10, v8, v9
	v_fma_f32 v11, -v7, v10, v8
	v_fmac_f32_e32 v10, v11, v9
	v_fma_f32 v7, -v7, v10, v8
	v_div_fmas_f32 v7, v7, v9, v10
	v_div_fixup_f32 v20, v7, s18, v6
.LBB31_792:
	s_or_b64 exec, exec, s[16:17]
	v_add_u32_e32 v6, 0x500, v14
	v_cmp_lt_u32_e64 s[14:15], v6, v12
	s_and_saveexec_b64 s[18:19], s[14:15]
	s_cbranch_execz .LBB31_822
; %bb.793:
	v_add_u32_e32 v6, v15, v6
	s_movk_i32 s16, 0x1388
	v_mul_lo_u32 v6, v6, s16
	v_mov_b32_e32 v8, 1
	v_cmp_ne_u32_e32 vcc, 0, v6
	s_and_saveexec_b64 s[16:17], vcc
	s_cbranch_execz .LBB31_819
; %bb.794:
	v_mov_b32_e32 v7, 0
	v_mov_b32_e32 v10, 1
	;; [unrolled: 1-line block ×3, first 2 shown]
	s_mov_b64 s[26:27], 0xbc8f
	v_mov_b32_e32 v11, 0
	s_mov_b64 s[20:21], 0
	s_brev_b32 s40, -2
	v_mov_b32_e32 v8, v6
	s_branch .LBB31_796
.LBB31_795:                             ;   in Loop: Header=BB31_796 Depth=1
	s_or_b64 exec, exec, s[28:29]
	s_mul_i32 s27, s26, s27
	s_mul_hi_u32 s28, s26, s26
	s_add_i32 s28, s28, s27
	s_add_i32 s28, s28, s27
	s_mul_i32 s29, s26, s26
	s_mul_i32 s27, s28, 3
	s_mul_hi_u32 s41, s29, 3
	s_mul_hi_u32 s26, s28, 3
	s_add_u32 s27, s27, s41
	s_addc_u32 s26, s26, 0
	s_mul_i32 s42, s29, 0x80000001
	s_mul_hi_u32 s41, s29, 0x80000001
	s_add_u32 s27, s42, s27
	s_addc_u32 s27, s41, 0
	s_add_u32 s26, s26, s27
	s_addc_u32 s27, 0, 0
	s_mul_i32 s42, s28, 0x80000001
	s_mul_hi_u32 s41, s28, 0x80000001
	s_add_u32 s26, s42, s26
	s_addc_u32 s27, s41, s27
	s_lshr_b32 s41, s27, 30
	s_lshr_b64 s[26:27], s[26:27], 30
	s_mul_i32 s41, s41, 0x7fffffff
	s_mul_hi_u32 s27, s26, 0x7fffffff
	v_lshrrev_b64 v[24:25], 1, v[8:9]
	s_add_i32 s27, s27, s41
	s_mul_i32 s26, s26, 0x7fffffff
	s_sub_u32 s26, s29, s26
	v_cmp_gt_u64_e32 vcc, 2, v[8:9]
	s_subb_u32 s27, s28, s27
	v_mov_b32_e32 v8, v24
	s_or_b64 s[20:21], vcc, s[20:21]
	v_mov_b32_e32 v9, v25
	s_andn2_b64 exec, exec, s[20:21]
	s_cbranch_execz .LBB31_818
.LBB31_796:                             ; =>This Inner Loop Header: Depth=1
	v_and_b32_e32 v6, 1, v8
	v_cmp_eq_u32_e32 vcc, 1, v6
	s_and_saveexec_b64 s[28:29], vcc
	s_cbranch_execz .LBB31_795
; %bb.797:                              ;   in Loop: Header=BB31_796 Depth=1
	v_mad_u64_u32 v[24:25], s[42:43], s26, v10, 0
	v_mul_lo_u32 v10, s27, v10
	v_mul_lo_u32 v11, s26, v11
	v_mul_hi_u32 v6, v24, 5
	v_add3_u32 v21, v25, v11, v10
	v_mad_u64_u32 v[10:11], s[42:43], v21, 5, v[6:7]
	v_mov_b32_e32 v6, v10
	v_mad_u64_u32 v[25:26], s[42:43], v24, 2, v[6:7]
	v_add_co_u32_e32 v10, vcc, v11, v26
	v_addc_co_u32_e64 v11, s[42:43], 0, 0, vcc
	v_mad_u64_u32 v[10:11], s[42:43], v21, 2, v[10:11]
	v_sub_co_u32_e32 v25, vcc, v24, v10
	v_subb_co_u32_e32 v26, vcc, v21, v11, vcc
	v_lshrrev_b64 v[25:26], 1, v[25:26]
	v_add_co_u32_e32 v6, vcc, v25, v10
	v_addc_co_u32_e32 v25, vcc, v26, v11, vcc
	v_alignbit_b32 v6, v25, v6, 30
	v_mad_u64_u32 v[10:11], s[42:43], v6, s40, 0
	v_lshrrev_b32_e32 v25, 30, v25
	v_mov_b32_e32 v6, v11
	v_mad_u64_u32 v[25:26], s[42:43], v25, s40, v[6:7]
	v_sub_co_u32_e32 v10, vcc, v24, v10
	v_subb_co_u32_e32 v11, vcc, v21, v25, vcc
	s_branch .LBB31_795
.LBB31_798:
	s_or_b64 exec, exec, s[18:19]
	v_add_u32_e32 v6, 0x80000001, v10
	v_min_u32_e32 v6, v6, v10
	v_add_u32_e32 v7, 0x80000001, v6
	v_min_u32_e32 v8, v7, v6
.LBB31_799:
	s_or_b64 exec, exec, s[14:15]
	v_mov_b32_e32 v7, 0
	s_movk_i32 s18, 0x1388
	s_mov_b32 s19, 0xbc8f1391
	s_mov_b32 s20, 0xbc8f
	s_brev_b32 s21, 12
	s_mov_b32 s22, 0xf800000
	v_mov_b32_e32 v6, 0x260
.LBB31_800:                             ; =>This Inner Loop Header: Depth=1
	v_mul_hi_u32 v9, v8, s19
	v_add_f32_e32 v10, 1.0, v7
	s_add_i32 s18, s18, -2
	s_cmp_lg_u32 s18, 0
	v_lshrrev_b32_e32 v9, 15, v9
	v_mul_u32_u24_e32 v11, 0xadc8, v9
	v_sub_u32_e32 v8, v8, v11
	v_mul_lo_u32 v8, v8, s20
	v_mul_u32_u24_e32 v9, 0xd47, v9
	v_xor_b32_e32 v11, 0x7fffffff, v9
	v_sub_u32_e32 v20, 0, v9
	v_cmp_lt_u32_e32 vcc, v8, v9
	v_cndmask_b32_e32 v9, v20, v11, vcc
	v_add_u32_e32 v8, v9, v8
	v_mul_hi_u32 v11, v8, s19
	v_add_u32_e32 v9, -1, v8
	v_cvt_f32_u32_e32 v9, v9
	v_lshrrev_b32_e32 v11, 15, v11
	v_mul_u32_u24_e32 v20, 0xadc8, v11
	v_sub_u32_e32 v8, v8, v20
	v_mul_lo_u32 v8, v8, s20
	v_mul_u32_u24_e32 v11, 0xd47, v11
	v_xor_b32_e32 v20, 0x7fffffff, v11
	v_sub_u32_e32 v33, 0, v11
	v_cmp_lt_u32_e32 vcc, v8, v11
	v_cndmask_b32_e32 v11, v33, v20, vcc
	v_add_u32_e32 v8, v11, v8
	v_mul_hi_u32 v20, v8, s19
	v_add_u32_e32 v11, -1, v8
	v_cvt_f32_u32_e32 v11, v11
	v_fma_f32 v9, v9, s21, 0
	v_lshrrev_b32_e32 v20, 15, v20
	v_mul_u32_u24_e32 v33, 0xadc8, v20
	v_fma_f32 v11, v11, s21, 0
	v_sub_u32_e32 v8, v8, v33
	v_mul_f32_e32 v11, v11, v11
	v_mul_lo_u32 v8, v8, s20
	v_fmac_f32_e32 v11, v9, v9
	v_mul_f32_e32 v9, 0x4f800000, v11
	v_cmp_gt_f32_e32 vcc, s22, v11
	v_mul_u32_u24_e32 v20, 0xd47, v20
	v_cndmask_b32_e32 v9, v11, v9, vcc
	v_xor_b32_e32 v33, 0x7fffffff, v20
	v_sub_u32_e32 v34, 0, v20
	v_sqrt_f32_e32 v11, v9
	v_cmp_lt_u32_e64 s[14:15], v8, v20
	v_cndmask_b32_e64 v20, v34, v33, s[14:15]
	v_add_u32_e32 v8, v20, v8
	v_mul_hi_u32 v33, v8, s19
	v_add_u32_e32 v34, -1, v11
	v_add_u32_e32 v35, 1, v11
	v_fma_f32 v36, -v34, v11, v9
	v_fma_f32 v37, -v35, v11, v9
	v_cmp_ge_f32_e64 s[14:15], 0, v36
	v_cndmask_b32_e64 v11, v11, v34, s[14:15]
	v_cmp_lt_f32_e64 s[14:15], 0, v37
	v_lshrrev_b32_e32 v33, 15, v33
	v_cndmask_b32_e64 v11, v11, v35, s[14:15]
	v_mul_u32_u24_e32 v35, 0xadc8, v33
	v_add_u32_e32 v20, -1, v8
	v_sub_u32_e32 v8, v8, v35
	v_mul_f32_e32 v34, 0x37800000, v11
	v_mul_lo_u32 v8, v8, s20
	v_cndmask_b32_e32 v11, v11, v34, vcc
	v_cmp_class_f32_e32 vcc, v9, v6
	v_cndmask_b32_e32 v9, v11, v9, vcc
	v_mul_u32_u24_e32 v33, 0xd47, v33
	v_cmp_nge_f32_e32 vcc, 1.0, v9
	v_xor_b32_e32 v34, 0x7fffffff, v33
	v_sub_u32_e32 v35, 0, v33
	v_cndmask_b32_e32 v7, v10, v7, vcc
	v_cmp_lt_u32_e32 vcc, v8, v33
	v_cndmask_b32_e32 v10, v35, v34, vcc
	v_add_u32_e32 v8, v10, v8
	v_add_u32_e32 v10, -1, v8
	v_cvt_f32_u32_e32 v10, v10
	v_cvt_f32_u32_e32 v20, v20
	v_add_f32_e32 v9, 1.0, v7
	v_fma_f32 v10, v10, s21, 0
	v_fma_f32 v20, v20, s21, 0
	v_mul_f32_e32 v10, v10, v10
	v_fmac_f32_e32 v10, v20, v20
	v_mul_f32_e32 v11, 0x4f800000, v10
	v_cmp_gt_f32_e32 vcc, s22, v10
	v_cndmask_b32_e32 v10, v10, v11, vcc
	v_sqrt_f32_e32 v11, v10
	v_add_u32_e32 v20, -1, v11
	v_add_u32_e32 v33, 1, v11
	v_fma_f32 v34, -v20, v11, v10
	v_fma_f32 v35, -v33, v11, v10
	v_cmp_ge_f32_e64 s[14:15], 0, v34
	v_cndmask_b32_e64 v11, v11, v20, s[14:15]
	v_cmp_lt_f32_e64 s[14:15], 0, v35
	v_cndmask_b32_e64 v11, v11, v33, s[14:15]
	v_mul_f32_e32 v20, 0x37800000, v11
	v_cndmask_b32_e32 v11, v11, v20, vcc
	v_cmp_class_f32_e32 vcc, v10, v6
	v_cndmask_b32_e32 v10, v11, v10, vcc
	v_cmp_nge_f32_e32 vcc, 1.0, v10
	v_cndmask_b32_e32 v7, v9, v7, vcc
	s_cbranch_scc1 .LBB31_800
; %bb.801:
	v_mul_f32_e32 v6, 4.0, v7
	s_mov_b32 s18, 0x459c4000
	v_div_scale_f32 v7, s[14:15], s18, s18, v6
	v_div_scale_f32 v8, vcc, v6, s18, v6
	v_rcp_f32_e32 v9, v7
	v_fma_f32 v10, -v7, v9, 1.0
	v_fmac_f32_e32 v9, v10, v9
	v_mul_f32_e32 v10, v8, v9
	v_fma_f32 v11, -v7, v10, v8
	v_fmac_f32_e32 v10, v11, v9
	v_fma_f32 v7, -v7, v10, v8
	v_div_fmas_f32 v7, v7, v9, v10
	v_div_fixup_f32 v20, v7, s18, v6
.LBB31_802:
	s_or_b64 exec, exec, s[16:17]
	v_add_u32_e32 v6, 0x500, v14
	v_cmp_lt_u32_e64 s[14:15], v6, v12
	s_and_saveexec_b64 s[18:19], s[14:15]
	s_cbranch_execz .LBB31_832
; %bb.803:
	v_add_u32_e32 v6, v15, v6
	s_movk_i32 s16, 0x1388
	v_mul_lo_u32 v6, v6, s16
	v_mov_b32_e32 v8, 1
	v_cmp_ne_u32_e32 vcc, 0, v6
	s_and_saveexec_b64 s[16:17], vcc
	s_cbranch_execz .LBB31_829
; %bb.804:
	v_mov_b32_e32 v7, 0
	v_mov_b32_e32 v10, 1
	;; [unrolled: 1-line block ×3, first 2 shown]
	s_mov_b64 s[22:23], 0xbc8f
	v_mov_b32_e32 v11, 0
	s_mov_b64 s[20:21], 0
	s_brev_b32 s26, -2
	v_mov_b32_e32 v8, v6
	s_branch .LBB31_806
.LBB31_805:                             ;   in Loop: Header=BB31_806 Depth=1
	s_or_b64 exec, exec, s[24:25]
	s_mul_i32 s23, s22, s23
	s_mul_hi_u32 s24, s22, s22
	s_add_i32 s24, s24, s23
	s_add_i32 s24, s24, s23
	s_mul_i32 s25, s22, s22
	s_mul_i32 s23, s24, 3
	s_mul_hi_u32 s27, s25, 3
	s_mul_hi_u32 s22, s24, 3
	s_add_u32 s23, s23, s27
	s_addc_u32 s22, s22, 0
	s_mul_i32 s28, s25, 0x80000001
	s_mul_hi_u32 s27, s25, 0x80000001
	s_add_u32 s23, s28, s23
	s_addc_u32 s23, s27, 0
	s_add_u32 s22, s22, s23
	s_addc_u32 s23, 0, 0
	s_mul_i32 s28, s24, 0x80000001
	s_mul_hi_u32 s27, s24, 0x80000001
	s_add_u32 s22, s28, s22
	s_addc_u32 s23, s27, s23
	s_lshr_b32 s27, s23, 30
	s_lshr_b64 s[22:23], s[22:23], 30
	s_mul_i32 s27, s27, 0x7fffffff
	s_mul_hi_u32 s23, s22, 0x7fffffff
	v_lshrrev_b64 v[33:34], 1, v[8:9]
	s_add_i32 s23, s23, s27
	s_mul_i32 s22, s22, 0x7fffffff
	s_sub_u32 s22, s25, s22
	v_cmp_gt_u64_e32 vcc, 2, v[8:9]
	s_subb_u32 s23, s24, s23
	v_mov_b32_e32 v8, v33
	s_or_b64 s[20:21], vcc, s[20:21]
	v_mov_b32_e32 v9, v34
	s_andn2_b64 exec, exec, s[20:21]
	s_cbranch_execz .LBB31_828
.LBB31_806:                             ; =>This Inner Loop Header: Depth=1
	v_and_b32_e32 v6, 1, v8
	v_cmp_eq_u32_e32 vcc, 1, v6
	s_and_saveexec_b64 s[24:25], vcc
	s_cbranch_execz .LBB31_805
; %bb.807:                              ;   in Loop: Header=BB31_806 Depth=1
	v_mad_u64_u32 v[33:34], s[28:29], s22, v10, 0
	v_mul_lo_u32 v10, s23, v10
	v_mul_lo_u32 v11, s22, v11
	v_mul_hi_u32 v6, v33, 5
	v_add3_u32 v21, v34, v11, v10
	v_mad_u64_u32 v[10:11], s[28:29], v21, 5, v[6:7]
	v_mov_b32_e32 v6, v10
	v_mad_u64_u32 v[34:35], s[28:29], v33, 2, v[6:7]
	v_add_co_u32_e32 v10, vcc, v11, v35
	v_addc_co_u32_e64 v11, s[28:29], 0, 0, vcc
	v_mad_u64_u32 v[10:11], s[28:29], v21, 2, v[10:11]
	v_sub_co_u32_e32 v34, vcc, v33, v10
	v_subb_co_u32_e32 v35, vcc, v21, v11, vcc
	v_lshrrev_b64 v[34:35], 1, v[34:35]
	v_add_co_u32_e32 v6, vcc, v34, v10
	v_addc_co_u32_e32 v34, vcc, v35, v11, vcc
	v_alignbit_b32 v6, v34, v6, 30
	v_mad_u64_u32 v[10:11], s[28:29], v6, s26, 0
	v_lshrrev_b32_e32 v34, 30, v34
	v_mov_b32_e32 v6, v11
	v_mad_u64_u32 v[34:35], s[28:29], v34, s26, v[6:7]
	v_sub_co_u32_e32 v10, vcc, v33, v10
	v_subb_co_u32_e32 v11, vcc, v21, v34, vcc
	s_branch .LBB31_805
.LBB31_808:
	s_or_b64 exec, exec, s[18:19]
	v_add_u32_e32 v4, 0x80000001, v8
	v_min_u32_e32 v4, v4, v8
	v_add_u32_e32 v5, 0x80000001, v4
	v_min_u32_e32 v6, v5, v4
.LBB31_809:
	s_or_b64 exec, exec, s[14:15]
	v_mov_b32_e32 v5, 0
	s_movk_i32 s18, 0x1388
	s_mov_b32 s19, 0xbc8f1391
	s_mov_b32 s20, 0xbc8f
	s_brev_b32 s21, 12
	s_mov_b32 s22, 0xf800000
	v_mov_b32_e32 v4, 0x260
.LBB31_810:                             ; =>This Inner Loop Header: Depth=1
	v_mul_hi_u32 v7, v6, s19
	v_add_f32_e32 v8, 1.0, v5
	s_add_i32 s18, s18, -2
	s_cmp_lg_u32 s18, 0
	v_lshrrev_b32_e32 v7, 15, v7
	v_mul_u32_u24_e32 v9, 0xadc8, v7
	v_sub_u32_e32 v6, v6, v9
	v_mul_lo_u32 v6, v6, s20
	v_mul_u32_u24_e32 v7, 0xd47, v7
	v_xor_b32_e32 v9, 0x7fffffff, v7
	v_sub_u32_e32 v18, 0, v7
	v_cmp_lt_u32_e32 vcc, v6, v7
	v_cndmask_b32_e32 v7, v18, v9, vcc
	v_add_u32_e32 v6, v7, v6
	v_mul_hi_u32 v9, v6, s19
	v_add_u32_e32 v7, -1, v6
	v_cvt_f32_u32_e32 v7, v7
	v_lshrrev_b32_e32 v9, 15, v9
	v_mul_u32_u24_e32 v18, 0xadc8, v9
	v_sub_u32_e32 v6, v6, v18
	v_mul_lo_u32 v6, v6, s20
	v_mul_u32_u24_e32 v9, 0xd47, v9
	v_xor_b32_e32 v18, 0x7fffffff, v9
	v_sub_u32_e32 v19, 0, v9
	v_cmp_lt_u32_e32 vcc, v6, v9
	v_cndmask_b32_e32 v9, v19, v18, vcc
	v_add_u32_e32 v6, v9, v6
	v_mul_hi_u32 v18, v6, s19
	v_add_u32_e32 v9, -1, v6
	v_cvt_f32_u32_e32 v9, v9
	v_fma_f32 v7, v7, s21, 0
	v_lshrrev_b32_e32 v18, 15, v18
	v_mul_u32_u24_e32 v19, 0xadc8, v18
	v_fma_f32 v9, v9, s21, 0
	v_sub_u32_e32 v6, v6, v19
	v_mul_f32_e32 v9, v9, v9
	v_mul_lo_u32 v6, v6, s20
	v_fmac_f32_e32 v9, v7, v7
	v_mul_f32_e32 v7, 0x4f800000, v9
	v_cmp_gt_f32_e32 vcc, s22, v9
	v_mul_u32_u24_e32 v18, 0xd47, v18
	v_cndmask_b32_e32 v7, v9, v7, vcc
	v_xor_b32_e32 v19, 0x7fffffff, v18
	v_sub_u32_e32 v20, 0, v18
	v_sqrt_f32_e32 v9, v7
	v_cmp_lt_u32_e64 s[14:15], v6, v18
	v_cndmask_b32_e64 v18, v20, v19, s[14:15]
	v_add_u32_e32 v6, v18, v6
	v_mul_hi_u32 v19, v6, s19
	v_add_u32_e32 v20, -1, v9
	v_add_u32_e32 v21, 1, v9
	v_fma_f32 v22, -v20, v9, v7
	v_fma_f32 v23, -v21, v9, v7
	v_cmp_ge_f32_e64 s[14:15], 0, v22
	v_cndmask_b32_e64 v9, v9, v20, s[14:15]
	v_cmp_lt_f32_e64 s[14:15], 0, v23
	v_lshrrev_b32_e32 v19, 15, v19
	v_cndmask_b32_e64 v9, v9, v21, s[14:15]
	v_mul_u32_u24_e32 v21, 0xadc8, v19
	v_add_u32_e32 v18, -1, v6
	v_sub_u32_e32 v6, v6, v21
	v_mul_f32_e32 v20, 0x37800000, v9
	v_mul_lo_u32 v6, v6, s20
	v_cndmask_b32_e32 v9, v9, v20, vcc
	v_cmp_class_f32_e32 vcc, v7, v4
	v_cndmask_b32_e32 v7, v9, v7, vcc
	v_mul_u32_u24_e32 v19, 0xd47, v19
	v_cmp_nge_f32_e32 vcc, 1.0, v7
	v_xor_b32_e32 v20, 0x7fffffff, v19
	v_sub_u32_e32 v21, 0, v19
	v_cndmask_b32_e32 v5, v8, v5, vcc
	v_cmp_lt_u32_e32 vcc, v6, v19
	v_cndmask_b32_e32 v8, v21, v20, vcc
	v_add_u32_e32 v6, v8, v6
	v_add_u32_e32 v8, -1, v6
	v_cvt_f32_u32_e32 v8, v8
	v_cvt_f32_u32_e32 v18, v18
	v_add_f32_e32 v7, 1.0, v5
	v_fma_f32 v8, v8, s21, 0
	v_fma_f32 v18, v18, s21, 0
	v_mul_f32_e32 v8, v8, v8
	v_fmac_f32_e32 v8, v18, v18
	v_mul_f32_e32 v9, 0x4f800000, v8
	v_cmp_gt_f32_e32 vcc, s22, v8
	v_cndmask_b32_e32 v8, v8, v9, vcc
	v_sqrt_f32_e32 v9, v8
	v_add_u32_e32 v18, -1, v9
	v_add_u32_e32 v19, 1, v9
	v_fma_f32 v20, -v18, v9, v8
	v_fma_f32 v21, -v19, v9, v8
	v_cmp_ge_f32_e64 s[14:15], 0, v20
	v_cndmask_b32_e64 v9, v9, v18, s[14:15]
	v_cmp_lt_f32_e64 s[14:15], 0, v21
	v_cndmask_b32_e64 v9, v9, v19, s[14:15]
	v_mul_f32_e32 v18, 0x37800000, v9
	v_cndmask_b32_e32 v9, v9, v18, vcc
	v_cmp_class_f32_e32 vcc, v8, v4
	v_cndmask_b32_e32 v8, v9, v8, vcc
	v_cmp_nge_f32_e32 vcc, 1.0, v8
	v_cndmask_b32_e32 v5, v7, v5, vcc
	s_cbranch_scc1 .LBB31_810
; %bb.811:
	v_mul_f32_e32 v4, 4.0, v5
	s_mov_b32 s18, 0x459c4000
	v_div_scale_f32 v5, s[14:15], s18, s18, v4
	v_div_scale_f32 v6, vcc, v4, s18, v4
	v_rcp_f32_e32 v7, v5
	v_fma_f32 v8, -v5, v7, 1.0
	v_fmac_f32_e32 v7, v8, v7
	v_mul_f32_e32 v8, v6, v7
	v_fma_f32 v9, -v5, v8, v6
	v_fmac_f32_e32 v8, v9, v7
	v_fma_f32 v5, -v5, v8, v6
	v_div_fmas_f32 v5, v5, v7, v8
	v_div_fixup_f32 v18, v5, s18, v4
.LBB31_812:
	s_or_b64 exec, exec, s[16:17]
	v_add_u32_e32 v4, 0x500, v12
	v_cmp_lt_u32_e64 s[14:15], v4, v10
                                        ; implicit-def: $vgpr19
	s_and_saveexec_b64 s[18:19], s[14:15]
	s_cbranch_execz .LBB31_842
; %bb.813:
	v_add_u32_e32 v4, v13, v4
	s_movk_i32 s16, 0x1388
	v_mul_lo_u32 v4, v4, s16
	v_mov_b32_e32 v6, 1
	v_cmp_ne_u32_e32 vcc, 0, v4
	s_and_saveexec_b64 s[16:17], vcc
	s_cbranch_execz .LBB31_839
; %bb.814:
	v_mov_b32_e32 v5, 0
	v_mov_b32_e32 v8, 1
	;; [unrolled: 1-line block ×3, first 2 shown]
	s_mov_b64 s[22:23], 0xbc8f
	v_mov_b32_e32 v9, 0
	s_mov_b64 s[20:21], 0
	s_brev_b32 s26, -2
	v_mov_b32_e32 v6, v4
	s_branch .LBB31_816
.LBB31_815:                             ;   in Loop: Header=BB31_816 Depth=1
	s_or_b64 exec, exec, s[24:25]
	s_mul_i32 s23, s22, s23
	s_mul_hi_u32 s24, s22, s22
	s_add_i32 s24, s24, s23
	s_add_i32 s24, s24, s23
	s_mul_i32 s25, s22, s22
	s_mul_i32 s23, s24, 3
	s_mul_hi_u32 s27, s25, 3
	s_mul_hi_u32 s22, s24, 3
	s_add_u32 s23, s23, s27
	s_addc_u32 s22, s22, 0
	s_mul_i32 s28, s25, 0x80000001
	s_mul_hi_u32 s27, s25, 0x80000001
	s_add_u32 s23, s28, s23
	s_addc_u32 s23, s27, 0
	s_add_u32 s22, s22, s23
	s_addc_u32 s23, 0, 0
	s_mul_i32 s28, s24, 0x80000001
	s_mul_hi_u32 s27, s24, 0x80000001
	s_add_u32 s22, s28, s22
	s_addc_u32 s23, s27, s23
	s_lshr_b32 s27, s23, 30
	s_lshr_b64 s[22:23], s[22:23], 30
	s_mul_i32 s27, s27, 0x7fffffff
	s_mul_hi_u32 s23, s22, 0x7fffffff
	v_lshrrev_b64 v[19:20], 1, v[6:7]
	s_add_i32 s23, s23, s27
	s_mul_i32 s22, s22, 0x7fffffff
	s_sub_u32 s22, s25, s22
	v_cmp_gt_u64_e32 vcc, 2, v[6:7]
	s_subb_u32 s23, s24, s23
	v_mov_b32_e32 v6, v19
	s_or_b64 s[20:21], vcc, s[20:21]
	v_mov_b32_e32 v7, v20
	s_andn2_b64 exec, exec, s[20:21]
	s_cbranch_execz .LBB31_838
.LBB31_816:                             ; =>This Inner Loop Header: Depth=1
	v_and_b32_e32 v4, 1, v6
	v_cmp_eq_u32_e32 vcc, 1, v4
	s_and_saveexec_b64 s[24:25], vcc
	s_cbranch_execz .LBB31_815
; %bb.817:                              ;   in Loop: Header=BB31_816 Depth=1
	v_mad_u64_u32 v[19:20], s[28:29], s22, v8, 0
	v_mul_lo_u32 v8, s23, v8
	v_mul_lo_u32 v9, s22, v9
	v_mul_hi_u32 v4, v19, 5
	v_add3_u32 v22, v20, v9, v8
	v_mad_u64_u32 v[8:9], s[28:29], v22, 5, v[4:5]
	v_mov_b32_e32 v4, v8
	v_mad_u64_u32 v[20:21], s[28:29], v19, 2, v[4:5]
	v_add_co_u32_e32 v8, vcc, v9, v21
	v_addc_co_u32_e64 v9, s[28:29], 0, 0, vcc
	v_mad_u64_u32 v[8:9], s[28:29], v22, 2, v[8:9]
	v_sub_co_u32_e32 v20, vcc, v19, v8
	v_subb_co_u32_e32 v21, vcc, v22, v9, vcc
	v_lshrrev_b64 v[20:21], 1, v[20:21]
	v_add_co_u32_e32 v4, vcc, v20, v8
	v_addc_co_u32_e32 v20, vcc, v21, v9, vcc
	v_alignbit_b32 v4, v20, v4, 30
	v_mad_u64_u32 v[8:9], s[28:29], v4, s26, 0
	v_lshrrev_b32_e32 v20, 30, v20
	v_mov_b32_e32 v4, v9
	v_mad_u64_u32 v[20:21], s[28:29], v20, s26, v[4:5]
	v_sub_co_u32_e32 v8, vcc, v19, v8
	v_subb_co_u32_e32 v9, vcc, v22, v20, vcc
	s_branch .LBB31_815
.LBB31_818:
	s_or_b64 exec, exec, s[20:21]
	v_add_u32_e32 v6, 0x80000001, v10
	v_min_u32_e32 v6, v6, v10
	v_add_u32_e32 v7, 0x80000001, v6
	v_min_u32_e32 v8, v7, v6
.LBB31_819:
	s_or_b64 exec, exec, s[16:17]
	v_mov_b32_e32 v7, 0
	s_movk_i32 s20, 0x1388
	s_mov_b32 s21, 0xbc8f1391
	s_mov_b32 s26, 0xbc8f
	s_brev_b32 s27, 12
	s_mov_b32 s28, 0xf800000
	v_mov_b32_e32 v6, 0x260
.LBB31_820:                             ; =>This Inner Loop Header: Depth=1
	v_mul_hi_u32 v9, v8, s21
	v_add_f32_e32 v10, 1.0, v7
	s_add_i32 s20, s20, -2
	s_cmp_lg_u32 s20, 0
	v_lshrrev_b32_e32 v9, 15, v9
	v_mul_u32_u24_e32 v11, 0xadc8, v9
	v_sub_u32_e32 v8, v8, v11
	v_mul_lo_u32 v8, v8, s26
	v_mul_u32_u24_e32 v9, 0xd47, v9
	v_xor_b32_e32 v11, 0x7fffffff, v9
	v_sub_u32_e32 v21, 0, v9
	v_cmp_lt_u32_e32 vcc, v8, v9
	v_cndmask_b32_e32 v9, v21, v11, vcc
	v_add_u32_e32 v8, v9, v8
	v_mul_hi_u32 v11, v8, s21
	v_add_u32_e32 v9, -1, v8
	v_cvt_f32_u32_e32 v9, v9
	v_lshrrev_b32_e32 v11, 15, v11
	v_mul_u32_u24_e32 v21, 0xadc8, v11
	v_sub_u32_e32 v8, v8, v21
	v_mul_lo_u32 v8, v8, s26
	v_mul_u32_u24_e32 v11, 0xd47, v11
	v_xor_b32_e32 v21, 0x7fffffff, v11
	v_sub_u32_e32 v24, 0, v11
	v_cmp_lt_u32_e32 vcc, v8, v11
	v_cndmask_b32_e32 v11, v24, v21, vcc
	v_add_u32_e32 v8, v11, v8
	v_mul_hi_u32 v21, v8, s21
	v_add_u32_e32 v11, -1, v8
	v_cvt_f32_u32_e32 v11, v11
	v_fma_f32 v9, v9, s27, 0
	v_lshrrev_b32_e32 v21, 15, v21
	v_mul_u32_u24_e32 v24, 0xadc8, v21
	v_fma_f32 v11, v11, s27, 0
	v_sub_u32_e32 v8, v8, v24
	v_mul_f32_e32 v11, v11, v11
	v_mul_lo_u32 v8, v8, s26
	v_fmac_f32_e32 v11, v9, v9
	v_mul_f32_e32 v9, 0x4f800000, v11
	v_cmp_gt_f32_e32 vcc, s28, v11
	v_mul_u32_u24_e32 v21, 0xd47, v21
	v_cndmask_b32_e32 v9, v11, v9, vcc
	v_xor_b32_e32 v24, 0x7fffffff, v21
	v_sub_u32_e32 v25, 0, v21
	v_sqrt_f32_e32 v11, v9
	v_cmp_lt_u32_e64 s[16:17], v8, v21
	v_cndmask_b32_e64 v21, v25, v24, s[16:17]
	v_add_u32_e32 v8, v21, v8
	v_mul_hi_u32 v24, v8, s21
	v_add_u32_e32 v25, -1, v11
	v_add_u32_e32 v26, 1, v11
	v_fma_f32 v27, -v25, v11, v9
	v_fma_f32 v28, -v26, v11, v9
	v_cmp_ge_f32_e64 s[16:17], 0, v27
	v_cndmask_b32_e64 v11, v11, v25, s[16:17]
	v_cmp_lt_f32_e64 s[16:17], 0, v28
	v_lshrrev_b32_e32 v24, 15, v24
	v_cndmask_b32_e64 v11, v11, v26, s[16:17]
	v_mul_u32_u24_e32 v26, 0xadc8, v24
	v_add_u32_e32 v21, -1, v8
	v_sub_u32_e32 v8, v8, v26
	v_mul_f32_e32 v25, 0x37800000, v11
	v_mul_lo_u32 v8, v8, s26
	v_cndmask_b32_e32 v11, v11, v25, vcc
	v_cmp_class_f32_e32 vcc, v9, v6
	v_cndmask_b32_e32 v9, v11, v9, vcc
	v_mul_u32_u24_e32 v24, 0xd47, v24
	v_cmp_nge_f32_e32 vcc, 1.0, v9
	v_xor_b32_e32 v25, 0x7fffffff, v24
	v_sub_u32_e32 v26, 0, v24
	v_cndmask_b32_e32 v7, v10, v7, vcc
	v_cmp_lt_u32_e32 vcc, v8, v24
	v_cndmask_b32_e32 v10, v26, v25, vcc
	v_add_u32_e32 v8, v10, v8
	v_add_u32_e32 v10, -1, v8
	v_cvt_f32_u32_e32 v10, v10
	v_cvt_f32_u32_e32 v21, v21
	v_add_f32_e32 v9, 1.0, v7
	v_fma_f32 v10, v10, s27, 0
	v_fma_f32 v21, v21, s27, 0
	v_mul_f32_e32 v10, v10, v10
	v_fmac_f32_e32 v10, v21, v21
	v_mul_f32_e32 v11, 0x4f800000, v10
	v_cmp_gt_f32_e32 vcc, s28, v10
	v_cndmask_b32_e32 v10, v10, v11, vcc
	v_sqrt_f32_e32 v11, v10
	v_add_u32_e32 v21, -1, v11
	v_add_u32_e32 v24, 1, v11
	v_fma_f32 v25, -v21, v11, v10
	v_fma_f32 v26, -v24, v11, v10
	v_cmp_ge_f32_e64 s[16:17], 0, v25
	v_cndmask_b32_e64 v11, v11, v21, s[16:17]
	v_cmp_lt_f32_e64 s[16:17], 0, v26
	v_cndmask_b32_e64 v11, v11, v24, s[16:17]
	v_mul_f32_e32 v21, 0x37800000, v11
	v_cndmask_b32_e32 v11, v11, v21, vcc
	v_cmp_class_f32_e32 vcc, v10, v6
	v_cndmask_b32_e32 v10, v11, v10, vcc
	v_cmp_nge_f32_e32 vcc, 1.0, v10
	v_cndmask_b32_e32 v7, v9, v7, vcc
	s_cbranch_scc1 .LBB31_820
; %bb.821:
	v_mul_f32_e32 v6, 4.0, v7
	s_mov_b32 s20, 0x459c4000
	v_div_scale_f32 v7, s[16:17], s20, s20, v6
	v_div_scale_f32 v8, vcc, v6, s20, v6
	v_rcp_f32_e32 v9, v7
	v_fma_f32 v10, -v7, v9, 1.0
	v_fmac_f32_e32 v9, v10, v9
	v_mul_f32_e32 v10, v8, v9
	v_fma_f32 v11, -v7, v10, v8
	v_fmac_f32_e32 v10, v11, v9
	v_fma_f32 v7, -v7, v10, v8
	v_div_fmas_f32 v7, v7, v9, v10
	v_div_fixup_f32 v21, v7, s20, v6
.LBB31_822:
	s_or_b64 exec, exec, s[18:19]
	v_add_u32_e32 v6, 0x600, v14
	v_cmp_lt_u32_e64 s[16:17], v6, v12
	s_and_saveexec_b64 s[20:21], s[16:17]
	s_cbranch_execz .LBB31_852
; %bb.823:
	v_add_u32_e32 v6, v15, v6
	s_movk_i32 s18, 0x1388
	v_mul_lo_u32 v6, v6, s18
	v_mov_b32_e32 v8, 1
	v_cmp_ne_u32_e32 vcc, 0, v6
	s_and_saveexec_b64 s[18:19], vcc
	s_cbranch_execz .LBB31_849
; %bb.824:
	v_mov_b32_e32 v7, 0
	v_mov_b32_e32 v10, 1
	v_mov_b32_e32 v9, v7
	s_mov_b64 s[28:29], 0xbc8f
	v_mov_b32_e32 v11, 0
	s_mov_b64 s[26:27], 0
	s_brev_b32 s42, -2
	v_mov_b32_e32 v8, v6
	s_branch .LBB31_826
.LBB31_825:                             ;   in Loop: Header=BB31_826 Depth=1
	s_or_b64 exec, exec, s[40:41]
	s_mul_i32 s29, s28, s29
	s_mul_hi_u32 s40, s28, s28
	s_add_i32 s40, s40, s29
	s_add_i32 s40, s40, s29
	s_mul_i32 s41, s28, s28
	s_mul_i32 s29, s40, 3
	s_mul_hi_u32 s43, s41, 3
	s_mul_hi_u32 s28, s40, 3
	s_add_u32 s29, s29, s43
	s_addc_u32 s28, s28, 0
	s_mul_i32 s44, s41, 0x80000001
	s_mul_hi_u32 s43, s41, 0x80000001
	s_add_u32 s29, s44, s29
	s_addc_u32 s29, s43, 0
	s_add_u32 s28, s28, s29
	s_addc_u32 s29, 0, 0
	s_mul_i32 s44, s40, 0x80000001
	s_mul_hi_u32 s43, s40, 0x80000001
	s_add_u32 s28, s44, s28
	s_addc_u32 s29, s43, s29
	s_lshr_b32 s43, s29, 30
	s_lshr_b64 s[28:29], s[28:29], 30
	s_mul_i32 s43, s43, 0x7fffffff
	s_mul_hi_u32 s29, s28, 0x7fffffff
	v_lshrrev_b64 v[24:25], 1, v[8:9]
	s_add_i32 s29, s29, s43
	s_mul_i32 s28, s28, 0x7fffffff
	s_sub_u32 s28, s41, s28
	v_cmp_gt_u64_e32 vcc, 2, v[8:9]
	s_subb_u32 s29, s40, s29
	v_mov_b32_e32 v8, v24
	s_or_b64 s[26:27], vcc, s[26:27]
	v_mov_b32_e32 v9, v25
	s_andn2_b64 exec, exec, s[26:27]
	s_cbranch_execz .LBB31_848
.LBB31_826:                             ; =>This Inner Loop Header: Depth=1
	v_and_b32_e32 v6, 1, v8
	v_cmp_eq_u32_e32 vcc, 1, v6
	s_and_saveexec_b64 s[40:41], vcc
	s_cbranch_execz .LBB31_825
; %bb.827:                              ;   in Loop: Header=BB31_826 Depth=1
	v_mad_u64_u32 v[24:25], s[44:45], s28, v10, 0
	v_mul_lo_u32 v10, s29, v10
	v_mul_lo_u32 v11, s28, v11
	v_mul_hi_u32 v6, v24, 5
	v_add3_u32 v22, v25, v11, v10
	v_mad_u64_u32 v[10:11], s[44:45], v22, 5, v[6:7]
	v_mov_b32_e32 v6, v10
	v_mad_u64_u32 v[25:26], s[44:45], v24, 2, v[6:7]
	v_add_co_u32_e32 v10, vcc, v11, v26
	v_addc_co_u32_e64 v11, s[44:45], 0, 0, vcc
	v_mad_u64_u32 v[10:11], s[44:45], v22, 2, v[10:11]
	v_sub_co_u32_e32 v25, vcc, v24, v10
	v_subb_co_u32_e32 v26, vcc, v22, v11, vcc
	v_lshrrev_b64 v[25:26], 1, v[25:26]
	v_add_co_u32_e32 v6, vcc, v25, v10
	v_addc_co_u32_e32 v25, vcc, v26, v11, vcc
	v_alignbit_b32 v6, v25, v6, 30
	v_mad_u64_u32 v[10:11], s[44:45], v6, s42, 0
	v_lshrrev_b32_e32 v25, 30, v25
	v_mov_b32_e32 v6, v11
	v_mad_u64_u32 v[25:26], s[44:45], v25, s42, v[6:7]
	v_sub_co_u32_e32 v10, vcc, v24, v10
	v_subb_co_u32_e32 v11, vcc, v22, v25, vcc
	s_branch .LBB31_825
.LBB31_828:
	s_or_b64 exec, exec, s[20:21]
	v_add_u32_e32 v6, 0x80000001, v10
	v_min_u32_e32 v6, v6, v10
	v_add_u32_e32 v7, 0x80000001, v6
	v_min_u32_e32 v8, v7, v6
.LBB31_829:
	s_or_b64 exec, exec, s[16:17]
	v_mov_b32_e32 v7, 0
	s_movk_i32 s20, 0x1388
	s_mov_b32 s21, 0xbc8f1391
	s_mov_b32 s22, 0xbc8f
	s_brev_b32 s23, 12
	s_mov_b32 s24, 0xf800000
	v_mov_b32_e32 v6, 0x260
.LBB31_830:                             ; =>This Inner Loop Header: Depth=1
	v_mul_hi_u32 v9, v8, s21
	v_add_f32_e32 v10, 1.0, v7
	s_add_i32 s20, s20, -2
	s_cmp_lg_u32 s20, 0
	v_lshrrev_b32_e32 v9, 15, v9
	v_mul_u32_u24_e32 v11, 0xadc8, v9
	v_sub_u32_e32 v8, v8, v11
	v_mul_lo_u32 v8, v8, s22
	v_mul_u32_u24_e32 v9, 0xd47, v9
	v_xor_b32_e32 v11, 0x7fffffff, v9
	v_sub_u32_e32 v21, 0, v9
	v_cmp_lt_u32_e32 vcc, v8, v9
	v_cndmask_b32_e32 v9, v21, v11, vcc
	v_add_u32_e32 v8, v9, v8
	v_mul_hi_u32 v11, v8, s21
	v_add_u32_e32 v9, -1, v8
	v_cvt_f32_u32_e32 v9, v9
	v_lshrrev_b32_e32 v11, 15, v11
	v_mul_u32_u24_e32 v21, 0xadc8, v11
	v_sub_u32_e32 v8, v8, v21
	v_mul_lo_u32 v8, v8, s22
	v_mul_u32_u24_e32 v11, 0xd47, v11
	v_xor_b32_e32 v21, 0x7fffffff, v11
	v_sub_u32_e32 v33, 0, v11
	v_cmp_lt_u32_e32 vcc, v8, v11
	v_cndmask_b32_e32 v11, v33, v21, vcc
	v_add_u32_e32 v8, v11, v8
	v_mul_hi_u32 v21, v8, s21
	v_add_u32_e32 v11, -1, v8
	v_cvt_f32_u32_e32 v11, v11
	v_fma_f32 v9, v9, s23, 0
	v_lshrrev_b32_e32 v21, 15, v21
	v_mul_u32_u24_e32 v33, 0xadc8, v21
	v_fma_f32 v11, v11, s23, 0
	v_sub_u32_e32 v8, v8, v33
	v_mul_f32_e32 v11, v11, v11
	v_mul_lo_u32 v8, v8, s22
	v_fmac_f32_e32 v11, v9, v9
	v_mul_f32_e32 v9, 0x4f800000, v11
	v_cmp_gt_f32_e32 vcc, s24, v11
	v_mul_u32_u24_e32 v21, 0xd47, v21
	v_cndmask_b32_e32 v9, v11, v9, vcc
	v_xor_b32_e32 v33, 0x7fffffff, v21
	v_sub_u32_e32 v34, 0, v21
	v_sqrt_f32_e32 v11, v9
	v_cmp_lt_u32_e64 s[16:17], v8, v21
	v_cndmask_b32_e64 v21, v34, v33, s[16:17]
	v_add_u32_e32 v8, v21, v8
	v_mul_hi_u32 v33, v8, s21
	v_add_u32_e32 v34, -1, v11
	v_add_u32_e32 v35, 1, v11
	v_fma_f32 v36, -v34, v11, v9
	v_fma_f32 v37, -v35, v11, v9
	v_cmp_ge_f32_e64 s[16:17], 0, v36
	v_cndmask_b32_e64 v11, v11, v34, s[16:17]
	v_cmp_lt_f32_e64 s[16:17], 0, v37
	v_lshrrev_b32_e32 v33, 15, v33
	v_cndmask_b32_e64 v11, v11, v35, s[16:17]
	v_mul_u32_u24_e32 v35, 0xadc8, v33
	v_add_u32_e32 v21, -1, v8
	v_sub_u32_e32 v8, v8, v35
	v_mul_f32_e32 v34, 0x37800000, v11
	v_mul_lo_u32 v8, v8, s22
	v_cndmask_b32_e32 v11, v11, v34, vcc
	v_cmp_class_f32_e32 vcc, v9, v6
	v_cndmask_b32_e32 v9, v11, v9, vcc
	v_mul_u32_u24_e32 v33, 0xd47, v33
	v_cmp_nge_f32_e32 vcc, 1.0, v9
	v_xor_b32_e32 v34, 0x7fffffff, v33
	v_sub_u32_e32 v35, 0, v33
	v_cndmask_b32_e32 v7, v10, v7, vcc
	v_cmp_lt_u32_e32 vcc, v8, v33
	v_cndmask_b32_e32 v10, v35, v34, vcc
	v_add_u32_e32 v8, v10, v8
	v_add_u32_e32 v10, -1, v8
	v_cvt_f32_u32_e32 v10, v10
	v_cvt_f32_u32_e32 v21, v21
	v_add_f32_e32 v9, 1.0, v7
	v_fma_f32 v10, v10, s23, 0
	v_fma_f32 v21, v21, s23, 0
	v_mul_f32_e32 v10, v10, v10
	v_fmac_f32_e32 v10, v21, v21
	v_mul_f32_e32 v11, 0x4f800000, v10
	v_cmp_gt_f32_e32 vcc, s24, v10
	v_cndmask_b32_e32 v10, v10, v11, vcc
	v_sqrt_f32_e32 v11, v10
	v_add_u32_e32 v21, -1, v11
	v_add_u32_e32 v33, 1, v11
	v_fma_f32 v34, -v21, v11, v10
	v_fma_f32 v35, -v33, v11, v10
	v_cmp_ge_f32_e64 s[16:17], 0, v34
	v_cndmask_b32_e64 v11, v11, v21, s[16:17]
	v_cmp_lt_f32_e64 s[16:17], 0, v35
	v_cndmask_b32_e64 v11, v11, v33, s[16:17]
	v_mul_f32_e32 v21, 0x37800000, v11
	v_cndmask_b32_e32 v11, v11, v21, vcc
	v_cmp_class_f32_e32 vcc, v10, v6
	v_cndmask_b32_e32 v10, v11, v10, vcc
	v_cmp_nge_f32_e32 vcc, 1.0, v10
	v_cndmask_b32_e32 v7, v9, v7, vcc
	s_cbranch_scc1 .LBB31_830
; %bb.831:
	v_mul_f32_e32 v6, 4.0, v7
	s_mov_b32 s20, 0x459c4000
	v_div_scale_f32 v7, s[16:17], s20, s20, v6
	v_div_scale_f32 v8, vcc, v6, s20, v6
	v_rcp_f32_e32 v9, v7
	v_fma_f32 v10, -v7, v9, 1.0
	v_fmac_f32_e32 v9, v10, v9
	v_mul_f32_e32 v10, v8, v9
	v_fma_f32 v11, -v7, v10, v8
	v_fmac_f32_e32 v10, v11, v9
	v_fma_f32 v7, -v7, v10, v8
	v_div_fmas_f32 v7, v7, v9, v10
	v_div_fixup_f32 v21, v7, s20, v6
.LBB31_832:
	s_or_b64 exec, exec, s[18:19]
	v_add_u32_e32 v6, 0x600, v14
	v_cmp_lt_u32_e64 s[16:17], v6, v12
	s_and_saveexec_b64 s[20:21], s[16:17]
	s_cbranch_execz .LBB31_862
; %bb.833:
	v_add_u32_e32 v6, v15, v6
	s_movk_i32 s18, 0x1388
	v_mul_lo_u32 v6, v6, s18
	v_mov_b32_e32 v8, 1
	v_cmp_ne_u32_e32 vcc, 0, v6
	s_and_saveexec_b64 s[18:19], vcc
	s_cbranch_execz .LBB31_859
; %bb.834:
	v_mov_b32_e32 v7, 0
	v_mov_b32_e32 v10, 1
	;; [unrolled: 1-line block ×3, first 2 shown]
	s_mov_b64 s[24:25], 0xbc8f
	v_mov_b32_e32 v11, 0
	s_mov_b64 s[22:23], 0
	s_brev_b32 s28, -2
	v_mov_b32_e32 v8, v6
	s_branch .LBB31_836
.LBB31_835:                             ;   in Loop: Header=BB31_836 Depth=1
	s_or_b64 exec, exec, s[26:27]
	s_mul_i32 s25, s24, s25
	s_mul_hi_u32 s26, s24, s24
	s_add_i32 s26, s26, s25
	s_add_i32 s26, s26, s25
	s_mul_i32 s27, s24, s24
	s_mul_i32 s25, s26, 3
	s_mul_hi_u32 s29, s27, 3
	s_mul_hi_u32 s24, s26, 3
	s_add_u32 s25, s25, s29
	s_addc_u32 s24, s24, 0
	s_mul_i32 s40, s27, 0x80000001
	s_mul_hi_u32 s29, s27, 0x80000001
	s_add_u32 s25, s40, s25
	s_addc_u32 s25, s29, 0
	s_add_u32 s24, s24, s25
	s_addc_u32 s25, 0, 0
	s_mul_i32 s40, s26, 0x80000001
	s_mul_hi_u32 s29, s26, 0x80000001
	s_add_u32 s24, s40, s24
	s_addc_u32 s25, s29, s25
	s_lshr_b32 s29, s25, 30
	s_lshr_b64 s[24:25], s[24:25], 30
	s_mul_i32 s29, s29, 0x7fffffff
	s_mul_hi_u32 s25, s24, 0x7fffffff
	v_lshrrev_b64 v[33:34], 1, v[8:9]
	s_add_i32 s25, s25, s29
	s_mul_i32 s24, s24, 0x7fffffff
	s_sub_u32 s24, s27, s24
	v_cmp_gt_u64_e32 vcc, 2, v[8:9]
	s_subb_u32 s25, s26, s25
	v_mov_b32_e32 v8, v33
	s_or_b64 s[22:23], vcc, s[22:23]
	v_mov_b32_e32 v9, v34
	s_andn2_b64 exec, exec, s[22:23]
	s_cbranch_execz .LBB31_858
.LBB31_836:                             ; =>This Inner Loop Header: Depth=1
	v_and_b32_e32 v6, 1, v8
	v_cmp_eq_u32_e32 vcc, 1, v6
	s_and_saveexec_b64 s[26:27], vcc
	s_cbranch_execz .LBB31_835
; %bb.837:                              ;   in Loop: Header=BB31_836 Depth=1
	v_mad_u64_u32 v[33:34], s[40:41], s24, v10, 0
	v_mul_lo_u32 v10, s25, v10
	v_mul_lo_u32 v11, s24, v11
	v_mul_hi_u32 v6, v33, 5
	v_add3_u32 v22, v34, v11, v10
	v_mad_u64_u32 v[10:11], s[40:41], v22, 5, v[6:7]
	v_mov_b32_e32 v6, v10
	v_mad_u64_u32 v[34:35], s[40:41], v33, 2, v[6:7]
	v_add_co_u32_e32 v10, vcc, v11, v35
	v_addc_co_u32_e64 v11, s[40:41], 0, 0, vcc
	v_mad_u64_u32 v[10:11], s[40:41], v22, 2, v[10:11]
	v_sub_co_u32_e32 v34, vcc, v33, v10
	v_subb_co_u32_e32 v35, vcc, v22, v11, vcc
	v_lshrrev_b64 v[34:35], 1, v[34:35]
	v_add_co_u32_e32 v6, vcc, v34, v10
	v_addc_co_u32_e32 v34, vcc, v35, v11, vcc
	v_alignbit_b32 v6, v34, v6, 30
	v_mad_u64_u32 v[10:11], s[40:41], v6, s28, 0
	v_lshrrev_b32_e32 v34, 30, v34
	v_mov_b32_e32 v6, v11
	v_mad_u64_u32 v[34:35], s[40:41], v34, s28, v[6:7]
	v_sub_co_u32_e32 v10, vcc, v33, v10
	v_subb_co_u32_e32 v11, vcc, v22, v34, vcc
	s_branch .LBB31_835
.LBB31_838:
	s_or_b64 exec, exec, s[20:21]
	v_add_u32_e32 v4, 0x80000001, v8
	v_min_u32_e32 v4, v4, v8
	v_add_u32_e32 v5, 0x80000001, v4
	v_min_u32_e32 v6, v5, v4
.LBB31_839:
	s_or_b64 exec, exec, s[16:17]
	v_mov_b32_e32 v5, 0
	s_movk_i32 s20, 0x1388
	s_mov_b32 s21, 0xbc8f1391
	s_mov_b32 s22, 0xbc8f
	s_brev_b32 s23, 12
	s_mov_b32 s24, 0xf800000
	v_mov_b32_e32 v4, 0x260
.LBB31_840:                             ; =>This Inner Loop Header: Depth=1
	v_mul_hi_u32 v7, v6, s21
	v_add_f32_e32 v8, 1.0, v5
	s_add_i32 s20, s20, -2
	s_cmp_lg_u32 s20, 0
	v_lshrrev_b32_e32 v7, 15, v7
	v_mul_u32_u24_e32 v9, 0xadc8, v7
	v_sub_u32_e32 v6, v6, v9
	v_mul_lo_u32 v6, v6, s22
	v_mul_u32_u24_e32 v7, 0xd47, v7
	v_xor_b32_e32 v9, 0x7fffffff, v7
	v_sub_u32_e32 v19, 0, v7
	v_cmp_lt_u32_e32 vcc, v6, v7
	v_cndmask_b32_e32 v7, v19, v9, vcc
	v_add_u32_e32 v6, v7, v6
	v_mul_hi_u32 v9, v6, s21
	v_add_u32_e32 v7, -1, v6
	v_cvt_f32_u32_e32 v7, v7
	v_lshrrev_b32_e32 v9, 15, v9
	v_mul_u32_u24_e32 v19, 0xadc8, v9
	v_sub_u32_e32 v6, v6, v19
	v_mul_lo_u32 v6, v6, s22
	v_mul_u32_u24_e32 v9, 0xd47, v9
	v_xor_b32_e32 v19, 0x7fffffff, v9
	v_sub_u32_e32 v20, 0, v9
	v_cmp_lt_u32_e32 vcc, v6, v9
	v_cndmask_b32_e32 v9, v20, v19, vcc
	v_add_u32_e32 v6, v9, v6
	v_mul_hi_u32 v19, v6, s21
	v_add_u32_e32 v9, -1, v6
	v_cvt_f32_u32_e32 v9, v9
	v_fma_f32 v7, v7, s23, 0
	v_lshrrev_b32_e32 v19, 15, v19
	v_mul_u32_u24_e32 v20, 0xadc8, v19
	v_fma_f32 v9, v9, s23, 0
	v_sub_u32_e32 v6, v6, v20
	v_mul_f32_e32 v9, v9, v9
	v_mul_lo_u32 v6, v6, s22
	v_fmac_f32_e32 v9, v7, v7
	v_mul_f32_e32 v7, 0x4f800000, v9
	v_cmp_gt_f32_e32 vcc, s24, v9
	v_mul_u32_u24_e32 v19, 0xd47, v19
	v_cndmask_b32_e32 v7, v9, v7, vcc
	v_xor_b32_e32 v20, 0x7fffffff, v19
	v_sub_u32_e32 v21, 0, v19
	v_sqrt_f32_e32 v9, v7
	v_cmp_lt_u32_e64 s[16:17], v6, v19
	v_cndmask_b32_e64 v19, v21, v20, s[16:17]
	v_add_u32_e32 v6, v19, v6
	v_mul_hi_u32 v20, v6, s21
	v_add_u32_e32 v21, -1, v9
	v_add_u32_e32 v22, 1, v9
	v_fma_f32 v23, -v21, v9, v7
	v_fma_f32 v24, -v22, v9, v7
	v_cmp_ge_f32_e64 s[16:17], 0, v23
	v_cndmask_b32_e64 v9, v9, v21, s[16:17]
	v_cmp_lt_f32_e64 s[16:17], 0, v24
	v_lshrrev_b32_e32 v20, 15, v20
	v_cndmask_b32_e64 v9, v9, v22, s[16:17]
	v_mul_u32_u24_e32 v22, 0xadc8, v20
	v_add_u32_e32 v19, -1, v6
	v_sub_u32_e32 v6, v6, v22
	v_mul_f32_e32 v21, 0x37800000, v9
	v_mul_lo_u32 v6, v6, s22
	v_cndmask_b32_e32 v9, v9, v21, vcc
	v_cmp_class_f32_e32 vcc, v7, v4
	v_cndmask_b32_e32 v7, v9, v7, vcc
	v_mul_u32_u24_e32 v20, 0xd47, v20
	v_cmp_nge_f32_e32 vcc, 1.0, v7
	v_xor_b32_e32 v21, 0x7fffffff, v20
	v_sub_u32_e32 v22, 0, v20
	v_cndmask_b32_e32 v5, v8, v5, vcc
	v_cmp_lt_u32_e32 vcc, v6, v20
	v_cndmask_b32_e32 v8, v22, v21, vcc
	v_add_u32_e32 v6, v8, v6
	v_add_u32_e32 v8, -1, v6
	v_cvt_f32_u32_e32 v8, v8
	v_cvt_f32_u32_e32 v19, v19
	v_add_f32_e32 v7, 1.0, v5
	v_fma_f32 v8, v8, s23, 0
	v_fma_f32 v19, v19, s23, 0
	v_mul_f32_e32 v8, v8, v8
	v_fmac_f32_e32 v8, v19, v19
	v_mul_f32_e32 v9, 0x4f800000, v8
	v_cmp_gt_f32_e32 vcc, s24, v8
	v_cndmask_b32_e32 v8, v8, v9, vcc
	v_sqrt_f32_e32 v9, v8
	v_add_u32_e32 v19, -1, v9
	v_add_u32_e32 v20, 1, v9
	v_fma_f32 v21, -v19, v9, v8
	v_fma_f32 v22, -v20, v9, v8
	v_cmp_ge_f32_e64 s[16:17], 0, v21
	v_cndmask_b32_e64 v9, v9, v19, s[16:17]
	v_cmp_lt_f32_e64 s[16:17], 0, v22
	v_cndmask_b32_e64 v9, v9, v20, s[16:17]
	v_mul_f32_e32 v19, 0x37800000, v9
	v_cndmask_b32_e32 v9, v9, v19, vcc
	v_cmp_class_f32_e32 vcc, v8, v4
	v_cndmask_b32_e32 v8, v9, v8, vcc
	v_cmp_nge_f32_e32 vcc, 1.0, v8
	v_cndmask_b32_e32 v5, v7, v5, vcc
	s_cbranch_scc1 .LBB31_840
; %bb.841:
	v_mul_f32_e32 v4, 4.0, v5
	s_mov_b32 s20, 0x459c4000
	v_div_scale_f32 v5, s[16:17], s20, s20, v4
	v_div_scale_f32 v6, vcc, v4, s20, v4
	v_rcp_f32_e32 v7, v5
	v_fma_f32 v8, -v5, v7, 1.0
	v_fmac_f32_e32 v7, v8, v7
	v_mul_f32_e32 v8, v6, v7
	v_fma_f32 v9, -v5, v8, v6
	v_fmac_f32_e32 v8, v9, v7
	v_fma_f32 v5, -v5, v8, v6
	v_div_fmas_f32 v5, v5, v7, v8
	v_div_fixup_f32 v19, v5, s20, v4
.LBB31_842:
	s_or_b64 exec, exec, s[18:19]
	v_add_u32_e32 v4, 0x600, v12
	v_cmp_lt_u32_e64 s[16:17], v4, v10
                                        ; implicit-def: $vgpr20
	s_and_saveexec_b64 s[20:21], s[16:17]
	s_cbranch_execz .LBB31_872
; %bb.843:
	v_add_u32_e32 v4, v13, v4
	s_movk_i32 s18, 0x1388
	v_mul_lo_u32 v4, v4, s18
	v_mov_b32_e32 v6, 1
	v_cmp_ne_u32_e32 vcc, 0, v4
	s_and_saveexec_b64 s[18:19], vcc
	s_cbranch_execz .LBB31_869
; %bb.844:
	v_mov_b32_e32 v5, 0
	v_mov_b32_e32 v8, 1
	;; [unrolled: 1-line block ×3, first 2 shown]
	s_mov_b64 s[24:25], 0xbc8f
	v_mov_b32_e32 v9, 0
	s_mov_b64 s[22:23], 0
	s_brev_b32 s28, -2
	v_mov_b32_e32 v6, v4
	s_branch .LBB31_846
.LBB31_845:                             ;   in Loop: Header=BB31_846 Depth=1
	s_or_b64 exec, exec, s[26:27]
	s_mul_i32 s25, s24, s25
	s_mul_hi_u32 s26, s24, s24
	s_add_i32 s26, s26, s25
	s_add_i32 s26, s26, s25
	s_mul_i32 s27, s24, s24
	s_mul_i32 s25, s26, 3
	s_mul_hi_u32 s29, s27, 3
	s_mul_hi_u32 s24, s26, 3
	s_add_u32 s25, s25, s29
	s_addc_u32 s24, s24, 0
	s_mul_i32 s40, s27, 0x80000001
	s_mul_hi_u32 s29, s27, 0x80000001
	s_add_u32 s25, s40, s25
	s_addc_u32 s25, s29, 0
	s_add_u32 s24, s24, s25
	s_addc_u32 s25, 0, 0
	s_mul_i32 s40, s26, 0x80000001
	s_mul_hi_u32 s29, s26, 0x80000001
	s_add_u32 s24, s40, s24
	s_addc_u32 s25, s29, s25
	s_lshr_b32 s29, s25, 30
	s_lshr_b64 s[24:25], s[24:25], 30
	s_mul_i32 s29, s29, 0x7fffffff
	s_mul_hi_u32 s25, s24, 0x7fffffff
	v_lshrrev_b64 v[20:21], 1, v[6:7]
	s_add_i32 s25, s25, s29
	s_mul_i32 s24, s24, 0x7fffffff
	s_sub_u32 s24, s27, s24
	v_cmp_gt_u64_e32 vcc, 2, v[6:7]
	s_subb_u32 s25, s26, s25
	v_mov_b32_e32 v6, v20
	s_or_b64 s[22:23], vcc, s[22:23]
	v_mov_b32_e32 v7, v21
	s_andn2_b64 exec, exec, s[22:23]
	s_cbranch_execz .LBB31_868
.LBB31_846:                             ; =>This Inner Loop Header: Depth=1
	v_and_b32_e32 v4, 1, v6
	v_cmp_eq_u32_e32 vcc, 1, v4
	s_and_saveexec_b64 s[26:27], vcc
	s_cbranch_execz .LBB31_845
; %bb.847:                              ;   in Loop: Header=BB31_846 Depth=1
	v_mad_u64_u32 v[20:21], s[40:41], s24, v8, 0
	v_mul_lo_u32 v8, s25, v8
	v_mul_lo_u32 v9, s24, v9
	v_mul_hi_u32 v4, v20, 5
	v_add3_u32 v23, v21, v9, v8
	v_mad_u64_u32 v[8:9], s[40:41], v23, 5, v[4:5]
	v_mov_b32_e32 v4, v8
	v_mad_u64_u32 v[21:22], s[40:41], v20, 2, v[4:5]
	v_add_co_u32_e32 v8, vcc, v9, v22
	v_addc_co_u32_e64 v9, s[40:41], 0, 0, vcc
	v_mad_u64_u32 v[8:9], s[40:41], v23, 2, v[8:9]
	v_sub_co_u32_e32 v21, vcc, v20, v8
	v_subb_co_u32_e32 v22, vcc, v23, v9, vcc
	v_lshrrev_b64 v[21:22], 1, v[21:22]
	v_add_co_u32_e32 v4, vcc, v21, v8
	v_addc_co_u32_e32 v21, vcc, v22, v9, vcc
	v_alignbit_b32 v4, v21, v4, 30
	v_mad_u64_u32 v[8:9], s[40:41], v4, s28, 0
	v_lshrrev_b32_e32 v21, 30, v21
	v_mov_b32_e32 v4, v9
	v_mad_u64_u32 v[21:22], s[40:41], v21, s28, v[4:5]
	v_sub_co_u32_e32 v8, vcc, v20, v8
	v_subb_co_u32_e32 v9, vcc, v23, v21, vcc
	s_branch .LBB31_845
.LBB31_848:
	s_or_b64 exec, exec, s[26:27]
	v_add_u32_e32 v6, 0x80000001, v10
	v_min_u32_e32 v6, v6, v10
	v_add_u32_e32 v7, 0x80000001, v6
	v_min_u32_e32 v8, v7, v6
.LBB31_849:
	s_or_b64 exec, exec, s[18:19]
	v_mov_b32_e32 v7, 0
	s_movk_i32 s26, 0x1388
	s_mov_b32 s27, 0xbc8f1391
	s_mov_b32 s28, 0xbc8f
	s_brev_b32 s29, 12
	s_mov_b32 s40, 0xf800000
	v_mov_b32_e32 v6, 0x260
.LBB31_850:                             ; =>This Inner Loop Header: Depth=1
	v_mul_hi_u32 v9, v8, s27
	v_add_f32_e32 v10, 1.0, v7
	s_add_i32 s26, s26, -2
	s_cmp_lg_u32 s26, 0
	v_lshrrev_b32_e32 v9, 15, v9
	v_mul_u32_u24_e32 v11, 0xadc8, v9
	v_sub_u32_e32 v8, v8, v11
	v_mul_lo_u32 v8, v8, s28
	v_mul_u32_u24_e32 v9, 0xd47, v9
	v_xor_b32_e32 v11, 0x7fffffff, v9
	v_sub_u32_e32 v22, 0, v9
	v_cmp_lt_u32_e32 vcc, v8, v9
	v_cndmask_b32_e32 v9, v22, v11, vcc
	v_add_u32_e32 v8, v9, v8
	v_mul_hi_u32 v11, v8, s27
	v_add_u32_e32 v9, -1, v8
	v_cvt_f32_u32_e32 v9, v9
	v_lshrrev_b32_e32 v11, 15, v11
	v_mul_u32_u24_e32 v22, 0xadc8, v11
	v_sub_u32_e32 v8, v8, v22
	v_mul_lo_u32 v8, v8, s28
	v_mul_u32_u24_e32 v11, 0xd47, v11
	v_xor_b32_e32 v22, 0x7fffffff, v11
	v_sub_u32_e32 v24, 0, v11
	v_cmp_lt_u32_e32 vcc, v8, v11
	v_cndmask_b32_e32 v11, v24, v22, vcc
	v_add_u32_e32 v8, v11, v8
	v_mul_hi_u32 v22, v8, s27
	v_add_u32_e32 v11, -1, v8
	v_cvt_f32_u32_e32 v11, v11
	v_fma_f32 v9, v9, s29, 0
	v_lshrrev_b32_e32 v22, 15, v22
	v_mul_u32_u24_e32 v24, 0xadc8, v22
	v_fma_f32 v11, v11, s29, 0
	v_sub_u32_e32 v8, v8, v24
	v_mul_f32_e32 v11, v11, v11
	v_mul_lo_u32 v8, v8, s28
	v_fmac_f32_e32 v11, v9, v9
	v_mul_f32_e32 v9, 0x4f800000, v11
	v_cmp_gt_f32_e32 vcc, s40, v11
	v_mul_u32_u24_e32 v22, 0xd47, v22
	v_cndmask_b32_e32 v9, v11, v9, vcc
	v_xor_b32_e32 v24, 0x7fffffff, v22
	v_sub_u32_e32 v25, 0, v22
	v_sqrt_f32_e32 v11, v9
	v_cmp_lt_u32_e64 s[18:19], v8, v22
	v_cndmask_b32_e64 v22, v25, v24, s[18:19]
	v_add_u32_e32 v8, v22, v8
	v_mul_hi_u32 v24, v8, s27
	v_add_u32_e32 v25, -1, v11
	v_add_u32_e32 v26, 1, v11
	v_fma_f32 v27, -v25, v11, v9
	v_fma_f32 v28, -v26, v11, v9
	v_cmp_ge_f32_e64 s[18:19], 0, v27
	v_cndmask_b32_e64 v11, v11, v25, s[18:19]
	v_cmp_lt_f32_e64 s[18:19], 0, v28
	v_lshrrev_b32_e32 v24, 15, v24
	v_cndmask_b32_e64 v11, v11, v26, s[18:19]
	v_mul_u32_u24_e32 v26, 0xadc8, v24
	v_add_u32_e32 v22, -1, v8
	v_sub_u32_e32 v8, v8, v26
	v_mul_f32_e32 v25, 0x37800000, v11
	v_mul_lo_u32 v8, v8, s28
	v_cndmask_b32_e32 v11, v11, v25, vcc
	v_cmp_class_f32_e32 vcc, v9, v6
	v_cndmask_b32_e32 v9, v11, v9, vcc
	v_mul_u32_u24_e32 v24, 0xd47, v24
	v_cmp_nge_f32_e32 vcc, 1.0, v9
	v_xor_b32_e32 v25, 0x7fffffff, v24
	v_sub_u32_e32 v26, 0, v24
	v_cndmask_b32_e32 v7, v10, v7, vcc
	v_cmp_lt_u32_e32 vcc, v8, v24
	v_cndmask_b32_e32 v10, v26, v25, vcc
	v_add_u32_e32 v8, v10, v8
	v_add_u32_e32 v10, -1, v8
	v_cvt_f32_u32_e32 v10, v10
	v_cvt_f32_u32_e32 v22, v22
	v_add_f32_e32 v9, 1.0, v7
	v_fma_f32 v10, v10, s29, 0
	v_fma_f32 v22, v22, s29, 0
	v_mul_f32_e32 v10, v10, v10
	v_fmac_f32_e32 v10, v22, v22
	v_mul_f32_e32 v11, 0x4f800000, v10
	v_cmp_gt_f32_e32 vcc, s40, v10
	v_cndmask_b32_e32 v10, v10, v11, vcc
	v_sqrt_f32_e32 v11, v10
	v_add_u32_e32 v22, -1, v11
	v_add_u32_e32 v24, 1, v11
	v_fma_f32 v25, -v22, v11, v10
	v_fma_f32 v26, -v24, v11, v10
	v_cmp_ge_f32_e64 s[18:19], 0, v25
	v_cndmask_b32_e64 v11, v11, v22, s[18:19]
	v_cmp_lt_f32_e64 s[18:19], 0, v26
	v_cndmask_b32_e64 v11, v11, v24, s[18:19]
	v_mul_f32_e32 v22, 0x37800000, v11
	v_cndmask_b32_e32 v11, v11, v22, vcc
	v_cmp_class_f32_e32 vcc, v10, v6
	v_cndmask_b32_e32 v10, v11, v10, vcc
	v_cmp_nge_f32_e32 vcc, 1.0, v10
	v_cndmask_b32_e32 v7, v9, v7, vcc
	s_cbranch_scc1 .LBB31_850
; %bb.851:
	v_mul_f32_e32 v6, 4.0, v7
	s_mov_b32 s26, 0x459c4000
	v_div_scale_f32 v7, s[18:19], s26, s26, v6
	v_div_scale_f32 v8, vcc, v6, s26, v6
	v_rcp_f32_e32 v9, v7
	v_fma_f32 v10, -v7, v9, 1.0
	v_fmac_f32_e32 v9, v10, v9
	v_mul_f32_e32 v10, v8, v9
	v_fma_f32 v11, -v7, v10, v8
	v_fmac_f32_e32 v10, v11, v9
	v_fma_f32 v7, -v7, v10, v8
	v_div_fmas_f32 v7, v7, v9, v10
	v_div_fixup_f32 v22, v7, s26, v6
.LBB31_852:
	s_or_b64 exec, exec, s[20:21]
	v_add_u32_e32 v6, 0x700, v14
	v_cmp_lt_u32_e64 s[18:19], v6, v12
	s_and_saveexec_b64 s[26:27], s[18:19]
	s_cbranch_execz .LBB31_882
; %bb.853:
	v_add_u32_e32 v6, v15, v6
	s_movk_i32 s20, 0x1388
	v_mul_lo_u32 v6, v6, s20
	v_mov_b32_e32 v8, 1
	v_cmp_ne_u32_e32 vcc, 0, v6
	s_and_saveexec_b64 s[20:21], vcc
	s_cbranch_execz .LBB31_879
; %bb.854:
	v_mov_b32_e32 v7, 0
	v_mov_b32_e32 v10, 1
	;; [unrolled: 1-line block ×3, first 2 shown]
	s_mov_b64 s[40:41], 0xbc8f
	v_mov_b32_e32 v11, 0
	s_mov_b64 s[28:29], 0
	s_brev_b32 s44, -2
	v_mov_b32_e32 v8, v6
	s_branch .LBB31_856
.LBB31_855:                             ;   in Loop: Header=BB31_856 Depth=1
	s_or_b64 exec, exec, s[42:43]
	s_mul_i32 s41, s40, s41
	s_mul_hi_u32 s42, s40, s40
	s_add_i32 s42, s42, s41
	s_add_i32 s42, s42, s41
	s_mul_i32 s43, s40, s40
	s_mul_i32 s41, s42, 3
	s_mul_hi_u32 s45, s43, 3
	s_mul_hi_u32 s40, s42, 3
	s_add_u32 s41, s41, s45
	s_addc_u32 s40, s40, 0
	s_mul_i32 s46, s43, 0x80000001
	s_mul_hi_u32 s45, s43, 0x80000001
	s_add_u32 s41, s46, s41
	s_addc_u32 s41, s45, 0
	s_add_u32 s40, s40, s41
	s_addc_u32 s41, 0, 0
	s_mul_i32 s46, s42, 0x80000001
	s_mul_hi_u32 s45, s42, 0x80000001
	s_add_u32 s40, s46, s40
	s_addc_u32 s41, s45, s41
	s_lshr_b32 s45, s41, 30
	s_lshr_b64 s[40:41], s[40:41], 30
	s_mul_i32 s45, s45, 0x7fffffff
	s_mul_hi_u32 s41, s40, 0x7fffffff
	v_lshrrev_b64 v[23:24], 1, v[8:9]
	s_add_i32 s41, s41, s45
	s_mul_i32 s40, s40, 0x7fffffff
	s_sub_u32 s40, s43, s40
	v_cmp_gt_u64_e32 vcc, 2, v[8:9]
	s_subb_u32 s41, s42, s41
	v_mov_b32_e32 v8, v23
	s_or_b64 s[28:29], vcc, s[28:29]
	v_mov_b32_e32 v9, v24
	s_andn2_b64 exec, exec, s[28:29]
	s_cbranch_execz .LBB31_878
.LBB31_856:                             ; =>This Inner Loop Header: Depth=1
	v_and_b32_e32 v6, 1, v8
	v_cmp_eq_u32_e32 vcc, 1, v6
	s_and_saveexec_b64 s[42:43], vcc
	s_cbranch_execz .LBB31_855
; %bb.857:                              ;   in Loop: Header=BB31_856 Depth=1
	v_mad_u64_u32 v[23:24], s[46:47], s40, v10, 0
	v_mul_lo_u32 v10, s41, v10
	v_mul_lo_u32 v11, s40, v11
	v_mul_hi_u32 v6, v23, 5
	v_add3_u32 v15, v24, v11, v10
	v_mad_u64_u32 v[10:11], s[46:47], v15, 5, v[6:7]
	v_mov_b32_e32 v6, v10
	v_mad_u64_u32 v[24:25], s[46:47], v23, 2, v[6:7]
	v_add_co_u32_e32 v10, vcc, v11, v25
	v_addc_co_u32_e64 v11, s[46:47], 0, 0, vcc
	v_mad_u64_u32 v[10:11], s[46:47], v15, 2, v[10:11]
	v_sub_co_u32_e32 v24, vcc, v23, v10
	v_subb_co_u32_e32 v25, vcc, v15, v11, vcc
	v_lshrrev_b64 v[24:25], 1, v[24:25]
	v_add_co_u32_e32 v6, vcc, v24, v10
	v_addc_co_u32_e32 v24, vcc, v25, v11, vcc
	v_alignbit_b32 v6, v24, v6, 30
	v_mad_u64_u32 v[10:11], s[46:47], v6, s44, 0
	v_lshrrev_b32_e32 v24, 30, v24
	v_mov_b32_e32 v6, v11
	v_mad_u64_u32 v[24:25], s[46:47], v24, s44, v[6:7]
	v_sub_co_u32_e32 v10, vcc, v23, v10
	v_subb_co_u32_e32 v11, vcc, v15, v24, vcc
	s_branch .LBB31_855
.LBB31_858:
	s_or_b64 exec, exec, s[22:23]
	v_add_u32_e32 v6, 0x80000001, v10
	v_min_u32_e32 v6, v6, v10
	v_add_u32_e32 v7, 0x80000001, v6
	v_min_u32_e32 v8, v7, v6
.LBB31_859:
	s_or_b64 exec, exec, s[18:19]
	v_mov_b32_e32 v7, 0
	s_movk_i32 s22, 0x1388
	s_mov_b32 s23, 0xbc8f1391
	s_mov_b32 s24, 0xbc8f
	s_brev_b32 s25, 12
	s_mov_b32 s26, 0xf800000
	v_mov_b32_e32 v6, 0x260
.LBB31_860:                             ; =>This Inner Loop Header: Depth=1
	v_mul_hi_u32 v9, v8, s23
	v_add_f32_e32 v10, 1.0, v7
	s_add_i32 s22, s22, -2
	s_cmp_lg_u32 s22, 0
	v_lshrrev_b32_e32 v9, 15, v9
	v_mul_u32_u24_e32 v11, 0xadc8, v9
	v_sub_u32_e32 v8, v8, v11
	v_mul_lo_u32 v8, v8, s24
	v_mul_u32_u24_e32 v9, 0xd47, v9
	v_xor_b32_e32 v11, 0x7fffffff, v9
	v_sub_u32_e32 v22, 0, v9
	v_cmp_lt_u32_e32 vcc, v8, v9
	v_cndmask_b32_e32 v9, v22, v11, vcc
	v_add_u32_e32 v8, v9, v8
	v_mul_hi_u32 v11, v8, s23
	v_add_u32_e32 v9, -1, v8
	v_cvt_f32_u32_e32 v9, v9
	v_lshrrev_b32_e32 v11, 15, v11
	v_mul_u32_u24_e32 v22, 0xadc8, v11
	v_sub_u32_e32 v8, v8, v22
	v_mul_lo_u32 v8, v8, s24
	v_mul_u32_u24_e32 v11, 0xd47, v11
	v_xor_b32_e32 v22, 0x7fffffff, v11
	v_sub_u32_e32 v33, 0, v11
	v_cmp_lt_u32_e32 vcc, v8, v11
	v_cndmask_b32_e32 v11, v33, v22, vcc
	v_add_u32_e32 v8, v11, v8
	v_mul_hi_u32 v22, v8, s23
	v_add_u32_e32 v11, -1, v8
	v_cvt_f32_u32_e32 v11, v11
	v_fma_f32 v9, v9, s25, 0
	v_lshrrev_b32_e32 v22, 15, v22
	v_mul_u32_u24_e32 v33, 0xadc8, v22
	v_fma_f32 v11, v11, s25, 0
	v_sub_u32_e32 v8, v8, v33
	v_mul_f32_e32 v11, v11, v11
	v_mul_lo_u32 v8, v8, s24
	v_fmac_f32_e32 v11, v9, v9
	v_mul_f32_e32 v9, 0x4f800000, v11
	v_cmp_gt_f32_e32 vcc, s26, v11
	v_mul_u32_u24_e32 v22, 0xd47, v22
	v_cndmask_b32_e32 v9, v11, v9, vcc
	v_xor_b32_e32 v33, 0x7fffffff, v22
	v_sub_u32_e32 v34, 0, v22
	v_sqrt_f32_e32 v11, v9
	v_cmp_lt_u32_e64 s[18:19], v8, v22
	v_cndmask_b32_e64 v22, v34, v33, s[18:19]
	v_add_u32_e32 v8, v22, v8
	v_mul_hi_u32 v33, v8, s23
	v_add_u32_e32 v34, -1, v11
	v_add_u32_e32 v35, 1, v11
	v_fma_f32 v36, -v34, v11, v9
	v_fma_f32 v37, -v35, v11, v9
	v_cmp_ge_f32_e64 s[18:19], 0, v36
	v_cndmask_b32_e64 v11, v11, v34, s[18:19]
	v_cmp_lt_f32_e64 s[18:19], 0, v37
	v_lshrrev_b32_e32 v33, 15, v33
	v_cndmask_b32_e64 v11, v11, v35, s[18:19]
	v_mul_u32_u24_e32 v35, 0xadc8, v33
	v_add_u32_e32 v22, -1, v8
	v_sub_u32_e32 v8, v8, v35
	v_mul_f32_e32 v34, 0x37800000, v11
	v_mul_lo_u32 v8, v8, s24
	v_cndmask_b32_e32 v11, v11, v34, vcc
	v_cmp_class_f32_e32 vcc, v9, v6
	v_cndmask_b32_e32 v9, v11, v9, vcc
	v_mul_u32_u24_e32 v33, 0xd47, v33
	v_cmp_nge_f32_e32 vcc, 1.0, v9
	v_xor_b32_e32 v34, 0x7fffffff, v33
	v_sub_u32_e32 v35, 0, v33
	v_cndmask_b32_e32 v7, v10, v7, vcc
	v_cmp_lt_u32_e32 vcc, v8, v33
	v_cndmask_b32_e32 v10, v35, v34, vcc
	v_add_u32_e32 v8, v10, v8
	v_add_u32_e32 v10, -1, v8
	v_cvt_f32_u32_e32 v10, v10
	v_cvt_f32_u32_e32 v22, v22
	v_add_f32_e32 v9, 1.0, v7
	v_fma_f32 v10, v10, s25, 0
	v_fma_f32 v22, v22, s25, 0
	v_mul_f32_e32 v10, v10, v10
	v_fmac_f32_e32 v10, v22, v22
	v_mul_f32_e32 v11, 0x4f800000, v10
	v_cmp_gt_f32_e32 vcc, s26, v10
	v_cndmask_b32_e32 v10, v10, v11, vcc
	v_sqrt_f32_e32 v11, v10
	v_add_u32_e32 v22, -1, v11
	v_add_u32_e32 v33, 1, v11
	v_fma_f32 v34, -v22, v11, v10
	v_fma_f32 v35, -v33, v11, v10
	v_cmp_ge_f32_e64 s[18:19], 0, v34
	v_cndmask_b32_e64 v11, v11, v22, s[18:19]
	v_cmp_lt_f32_e64 s[18:19], 0, v35
	v_cndmask_b32_e64 v11, v11, v33, s[18:19]
	v_mul_f32_e32 v22, 0x37800000, v11
	v_cndmask_b32_e32 v11, v11, v22, vcc
	v_cmp_class_f32_e32 vcc, v10, v6
	v_cndmask_b32_e32 v10, v11, v10, vcc
	v_cmp_nge_f32_e32 vcc, 1.0, v10
	v_cndmask_b32_e32 v7, v9, v7, vcc
	s_cbranch_scc1 .LBB31_860
; %bb.861:
	v_mul_f32_e32 v6, 4.0, v7
	s_mov_b32 s22, 0x459c4000
	v_div_scale_f32 v7, s[18:19], s22, s22, v6
	v_div_scale_f32 v8, vcc, v6, s22, v6
	v_rcp_f32_e32 v9, v7
	v_fma_f32 v10, -v7, v9, 1.0
	v_fmac_f32_e32 v9, v10, v9
	v_mul_f32_e32 v10, v8, v9
	v_fma_f32 v11, -v7, v10, v8
	v_fmac_f32_e32 v10, v11, v9
	v_fma_f32 v7, -v7, v10, v8
	v_div_fmas_f32 v7, v7, v9, v10
	v_div_fixup_f32 v22, v7, s22, v6
.LBB31_862:
	s_or_b64 exec, exec, s[20:21]
	v_add_u32_e32 v6, 0x700, v14
	v_cmp_lt_u32_e64 s[18:19], v6, v12
	s_and_saveexec_b64 s[22:23], s[18:19]
	s_cbranch_execz .LBB31_891
; %bb.863:
	v_add_u32_e32 v6, v15, v6
	s_movk_i32 s20, 0x1388
	v_mul_lo_u32 v6, v6, s20
	v_mov_b32_e32 v8, 1
	v_cmp_ne_u32_e32 vcc, 0, v6
	s_and_saveexec_b64 s[20:21], vcc
	s_cbranch_execz .LBB31_888
; %bb.864:
	v_mov_b32_e32 v7, 0
	v_mov_b32_e32 v10, 1
	;; [unrolled: 1-line block ×3, first 2 shown]
	s_mov_b64 s[26:27], 0xbc8f
	v_mov_b32_e32 v11, 0
	s_mov_b64 s[24:25], 0
	s_brev_b32 s40, -2
	v_mov_b32_e32 v8, v6
	s_branch .LBB31_866
.LBB31_865:                             ;   in Loop: Header=BB31_866 Depth=1
	s_or_b64 exec, exec, s[28:29]
	s_mul_i32 s27, s26, s27
	s_mul_hi_u32 s28, s26, s26
	s_add_i32 s28, s28, s27
	s_add_i32 s28, s28, s27
	s_mul_i32 s29, s26, s26
	s_mul_i32 s27, s28, 3
	s_mul_hi_u32 s41, s29, 3
	s_mul_hi_u32 s26, s28, 3
	s_add_u32 s27, s27, s41
	s_addc_u32 s26, s26, 0
	s_mul_i32 s42, s29, 0x80000001
	s_mul_hi_u32 s41, s29, 0x80000001
	s_add_u32 s27, s42, s27
	s_addc_u32 s27, s41, 0
	s_add_u32 s26, s26, s27
	s_addc_u32 s27, 0, 0
	s_mul_i32 s42, s28, 0x80000001
	s_mul_hi_u32 s41, s28, 0x80000001
	s_add_u32 s26, s42, s26
	s_addc_u32 s27, s41, s27
	s_lshr_b32 s41, s27, 30
	s_lshr_b64 s[26:27], s[26:27], 30
	s_mul_i32 s41, s41, 0x7fffffff
	s_mul_hi_u32 s27, s26, 0x7fffffff
	v_lshrrev_b64 v[33:34], 1, v[8:9]
	s_add_i32 s27, s27, s41
	s_mul_i32 s26, s26, 0x7fffffff
	s_sub_u32 s26, s29, s26
	v_cmp_gt_u64_e32 vcc, 2, v[8:9]
	s_subb_u32 s27, s28, s27
	v_mov_b32_e32 v8, v33
	s_or_b64 s[24:25], vcc, s[24:25]
	v_mov_b32_e32 v9, v34
	s_andn2_b64 exec, exec, s[24:25]
	s_cbranch_execz .LBB31_887
.LBB31_866:                             ; =>This Inner Loop Header: Depth=1
	v_and_b32_e32 v6, 1, v8
	v_cmp_eq_u32_e32 vcc, 1, v6
	s_and_saveexec_b64 s[28:29], vcc
	s_cbranch_execz .LBB31_865
; %bb.867:                              ;   in Loop: Header=BB31_866 Depth=1
	v_mad_u64_u32 v[33:34], s[42:43], s26, v10, 0
	v_mul_lo_u32 v10, s27, v10
	v_mul_lo_u32 v11, s26, v11
	v_mul_hi_u32 v6, v33, 5
	v_add3_u32 v23, v34, v11, v10
	v_mad_u64_u32 v[10:11], s[42:43], v23, 5, v[6:7]
	v_mov_b32_e32 v6, v10
	v_mad_u64_u32 v[34:35], s[42:43], v33, 2, v[6:7]
	v_add_co_u32_e32 v10, vcc, v11, v35
	v_addc_co_u32_e64 v11, s[42:43], 0, 0, vcc
	v_mad_u64_u32 v[10:11], s[42:43], v23, 2, v[10:11]
	v_sub_co_u32_e32 v34, vcc, v33, v10
	v_subb_co_u32_e32 v35, vcc, v23, v11, vcc
	v_lshrrev_b64 v[34:35], 1, v[34:35]
	v_add_co_u32_e32 v6, vcc, v34, v10
	v_addc_co_u32_e32 v34, vcc, v35, v11, vcc
	v_alignbit_b32 v6, v34, v6, 30
	v_mad_u64_u32 v[10:11], s[42:43], v6, s40, 0
	v_lshrrev_b32_e32 v34, 30, v34
	v_mov_b32_e32 v6, v11
	v_mad_u64_u32 v[34:35], s[42:43], v34, s40, v[6:7]
	v_sub_co_u32_e32 v10, vcc, v33, v10
	v_subb_co_u32_e32 v11, vcc, v23, v34, vcc
	s_branch .LBB31_865
.LBB31_868:
	s_or_b64 exec, exec, s[22:23]
	v_add_u32_e32 v4, 0x80000001, v8
	v_min_u32_e32 v4, v4, v8
	v_add_u32_e32 v5, 0x80000001, v4
	v_min_u32_e32 v6, v5, v4
.LBB31_869:
	s_or_b64 exec, exec, s[18:19]
	v_mov_b32_e32 v5, 0
	s_movk_i32 s22, 0x1388
	s_mov_b32 s23, 0xbc8f1391
	s_mov_b32 s24, 0xbc8f
	s_brev_b32 s25, 12
	s_mov_b32 s26, 0xf800000
	v_mov_b32_e32 v4, 0x260
.LBB31_870:                             ; =>This Inner Loop Header: Depth=1
	v_mul_hi_u32 v7, v6, s23
	v_add_f32_e32 v8, 1.0, v5
	s_add_i32 s22, s22, -2
	s_cmp_lg_u32 s22, 0
	v_lshrrev_b32_e32 v7, 15, v7
	v_mul_u32_u24_e32 v9, 0xadc8, v7
	v_sub_u32_e32 v6, v6, v9
	v_mul_lo_u32 v6, v6, s24
	v_mul_u32_u24_e32 v7, 0xd47, v7
	v_xor_b32_e32 v9, 0x7fffffff, v7
	v_sub_u32_e32 v20, 0, v7
	v_cmp_lt_u32_e32 vcc, v6, v7
	v_cndmask_b32_e32 v7, v20, v9, vcc
	v_add_u32_e32 v6, v7, v6
	v_mul_hi_u32 v9, v6, s23
	v_add_u32_e32 v7, -1, v6
	v_cvt_f32_u32_e32 v7, v7
	v_lshrrev_b32_e32 v9, 15, v9
	v_mul_u32_u24_e32 v20, 0xadc8, v9
	v_sub_u32_e32 v6, v6, v20
	v_mul_lo_u32 v6, v6, s24
	v_mul_u32_u24_e32 v9, 0xd47, v9
	v_xor_b32_e32 v20, 0x7fffffff, v9
	v_sub_u32_e32 v21, 0, v9
	v_cmp_lt_u32_e32 vcc, v6, v9
	v_cndmask_b32_e32 v9, v21, v20, vcc
	v_add_u32_e32 v6, v9, v6
	v_mul_hi_u32 v20, v6, s23
	v_add_u32_e32 v9, -1, v6
	v_cvt_f32_u32_e32 v9, v9
	v_fma_f32 v7, v7, s25, 0
	v_lshrrev_b32_e32 v20, 15, v20
	v_mul_u32_u24_e32 v21, 0xadc8, v20
	v_fma_f32 v9, v9, s25, 0
	v_sub_u32_e32 v6, v6, v21
	v_mul_f32_e32 v9, v9, v9
	v_mul_lo_u32 v6, v6, s24
	v_fmac_f32_e32 v9, v7, v7
	v_mul_f32_e32 v7, 0x4f800000, v9
	v_cmp_gt_f32_e32 vcc, s26, v9
	v_mul_u32_u24_e32 v20, 0xd47, v20
	v_cndmask_b32_e32 v7, v9, v7, vcc
	v_xor_b32_e32 v21, 0x7fffffff, v20
	v_sub_u32_e32 v22, 0, v20
	v_sqrt_f32_e32 v9, v7
	v_cmp_lt_u32_e64 s[18:19], v6, v20
	v_cndmask_b32_e64 v20, v22, v21, s[18:19]
	v_add_u32_e32 v6, v20, v6
	v_mul_hi_u32 v21, v6, s23
	v_add_u32_e32 v22, -1, v9
	v_add_u32_e32 v23, 1, v9
	v_fma_f32 v24, -v22, v9, v7
	v_fma_f32 v25, -v23, v9, v7
	v_cmp_ge_f32_e64 s[18:19], 0, v24
	v_cndmask_b32_e64 v9, v9, v22, s[18:19]
	v_cmp_lt_f32_e64 s[18:19], 0, v25
	v_lshrrev_b32_e32 v21, 15, v21
	v_cndmask_b32_e64 v9, v9, v23, s[18:19]
	v_mul_u32_u24_e32 v23, 0xadc8, v21
	v_add_u32_e32 v20, -1, v6
	v_sub_u32_e32 v6, v6, v23
	v_mul_f32_e32 v22, 0x37800000, v9
	v_mul_lo_u32 v6, v6, s24
	v_cndmask_b32_e32 v9, v9, v22, vcc
	v_cmp_class_f32_e32 vcc, v7, v4
	v_cndmask_b32_e32 v7, v9, v7, vcc
	v_mul_u32_u24_e32 v21, 0xd47, v21
	v_cmp_nge_f32_e32 vcc, 1.0, v7
	v_xor_b32_e32 v22, 0x7fffffff, v21
	v_sub_u32_e32 v23, 0, v21
	v_cndmask_b32_e32 v5, v8, v5, vcc
	v_cmp_lt_u32_e32 vcc, v6, v21
	v_cndmask_b32_e32 v8, v23, v22, vcc
	v_add_u32_e32 v6, v8, v6
	v_add_u32_e32 v8, -1, v6
	v_cvt_f32_u32_e32 v8, v8
	v_cvt_f32_u32_e32 v20, v20
	v_add_f32_e32 v7, 1.0, v5
	v_fma_f32 v8, v8, s25, 0
	v_fma_f32 v20, v20, s25, 0
	v_mul_f32_e32 v8, v8, v8
	v_fmac_f32_e32 v8, v20, v20
	v_mul_f32_e32 v9, 0x4f800000, v8
	v_cmp_gt_f32_e32 vcc, s26, v8
	v_cndmask_b32_e32 v8, v8, v9, vcc
	v_sqrt_f32_e32 v9, v8
	v_add_u32_e32 v20, -1, v9
	v_add_u32_e32 v21, 1, v9
	v_fma_f32 v22, -v20, v9, v8
	v_fma_f32 v23, -v21, v9, v8
	v_cmp_ge_f32_e64 s[18:19], 0, v22
	v_cndmask_b32_e64 v9, v9, v20, s[18:19]
	v_cmp_lt_f32_e64 s[18:19], 0, v23
	v_cndmask_b32_e64 v9, v9, v21, s[18:19]
	v_mul_f32_e32 v20, 0x37800000, v9
	v_cndmask_b32_e32 v9, v9, v20, vcc
	v_cmp_class_f32_e32 vcc, v8, v4
	v_cndmask_b32_e32 v8, v9, v8, vcc
	v_cmp_nge_f32_e32 vcc, 1.0, v8
	v_cndmask_b32_e32 v5, v7, v5, vcc
	s_cbranch_scc1 .LBB31_870
; %bb.871:
	v_mul_f32_e32 v4, 4.0, v5
	s_mov_b32 s22, 0x459c4000
	v_div_scale_f32 v5, s[18:19], s22, s22, v4
	v_div_scale_f32 v6, vcc, v4, s22, v4
	v_rcp_f32_e32 v7, v5
	v_fma_f32 v8, -v5, v7, 1.0
	v_fmac_f32_e32 v7, v8, v7
	v_mul_f32_e32 v8, v6, v7
	v_fma_f32 v9, -v5, v8, v6
	v_fmac_f32_e32 v8, v9, v7
	v_fma_f32 v5, -v5, v8, v6
	v_div_fmas_f32 v5, v5, v7, v8
	v_div_fixup_f32 v20, v5, s22, v4
.LBB31_872:
	s_or_b64 exec, exec, s[20:21]
	v_add_u32_e32 v4, 0x700, v12
	v_cmp_lt_u32_e64 s[18:19], v4, v10
                                        ; implicit-def: $vgpr21
	s_and_saveexec_b64 s[22:23], s[18:19]
	s_cbranch_execz .LBB31_901
; %bb.873:
	v_add_u32_e32 v4, v13, v4
	s_movk_i32 s20, 0x1388
	v_mul_lo_u32 v4, v4, s20
	v_mov_b32_e32 v6, 1
	v_cmp_ne_u32_e32 vcc, 0, v4
	s_and_saveexec_b64 s[20:21], vcc
	s_cbranch_execz .LBB31_898
; %bb.874:
	v_mov_b32_e32 v5, 0
	v_mov_b32_e32 v8, 1
	;; [unrolled: 1-line block ×3, first 2 shown]
	s_mov_b64 s[26:27], 0xbc8f
	v_mov_b32_e32 v9, 0
	s_mov_b64 s[24:25], 0
	s_brev_b32 s40, -2
	v_mov_b32_e32 v6, v4
	s_branch .LBB31_876
.LBB31_875:                             ;   in Loop: Header=BB31_876 Depth=1
	s_or_b64 exec, exec, s[28:29]
	s_mul_i32 s27, s26, s27
	s_mul_hi_u32 s28, s26, s26
	s_add_i32 s28, s28, s27
	s_add_i32 s28, s28, s27
	s_mul_i32 s29, s26, s26
	s_mul_i32 s27, s28, 3
	s_mul_hi_u32 s41, s29, 3
	s_mul_hi_u32 s26, s28, 3
	s_add_u32 s27, s27, s41
	s_addc_u32 s26, s26, 0
	s_mul_i32 s42, s29, 0x80000001
	s_mul_hi_u32 s41, s29, 0x80000001
	s_add_u32 s27, s42, s27
	s_addc_u32 s27, s41, 0
	s_add_u32 s26, s26, s27
	s_addc_u32 s27, 0, 0
	s_mul_i32 s42, s28, 0x80000001
	s_mul_hi_u32 s41, s28, 0x80000001
	s_add_u32 s26, s42, s26
	s_addc_u32 s27, s41, s27
	s_lshr_b32 s41, s27, 30
	s_lshr_b64 s[26:27], s[26:27], 30
	s_mul_i32 s41, s41, 0x7fffffff
	s_mul_hi_u32 s27, s26, 0x7fffffff
	v_lshrrev_b64 v[21:22], 1, v[6:7]
	s_add_i32 s27, s27, s41
	s_mul_i32 s26, s26, 0x7fffffff
	s_sub_u32 s26, s29, s26
	v_cmp_gt_u64_e32 vcc, 2, v[6:7]
	s_subb_u32 s27, s28, s27
	v_mov_b32_e32 v6, v21
	s_or_b64 s[24:25], vcc, s[24:25]
	v_mov_b32_e32 v7, v22
	s_andn2_b64 exec, exec, s[24:25]
	s_cbranch_execz .LBB31_897
.LBB31_876:                             ; =>This Inner Loop Header: Depth=1
	v_and_b32_e32 v4, 1, v6
	v_cmp_eq_u32_e32 vcc, 1, v4
	s_and_saveexec_b64 s[28:29], vcc
	s_cbranch_execz .LBB31_875
; %bb.877:                              ;   in Loop: Header=BB31_876 Depth=1
	v_mad_u64_u32 v[21:22], s[42:43], s26, v8, 0
	v_mul_lo_u32 v8, s27, v8
	v_mul_lo_u32 v9, s26, v9
	v_mul_hi_u32 v4, v21, 5
	v_add3_u32 v24, v22, v9, v8
	v_mad_u64_u32 v[8:9], s[42:43], v24, 5, v[4:5]
	v_mov_b32_e32 v4, v8
	v_mad_u64_u32 v[22:23], s[42:43], v21, 2, v[4:5]
	v_add_co_u32_e32 v8, vcc, v9, v23
	v_addc_co_u32_e64 v9, s[42:43], 0, 0, vcc
	v_mad_u64_u32 v[8:9], s[42:43], v24, 2, v[8:9]
	v_sub_co_u32_e32 v22, vcc, v21, v8
	v_subb_co_u32_e32 v23, vcc, v24, v9, vcc
	v_lshrrev_b64 v[22:23], 1, v[22:23]
	v_add_co_u32_e32 v4, vcc, v22, v8
	v_addc_co_u32_e32 v22, vcc, v23, v9, vcc
	v_alignbit_b32 v4, v22, v4, 30
	v_mad_u64_u32 v[8:9], s[42:43], v4, s40, 0
	v_lshrrev_b32_e32 v22, 30, v22
	v_mov_b32_e32 v4, v9
	v_mad_u64_u32 v[22:23], s[42:43], v22, s40, v[4:5]
	v_sub_co_u32_e32 v8, vcc, v21, v8
	v_subb_co_u32_e32 v9, vcc, v24, v22, vcc
	s_branch .LBB31_875
.LBB31_878:
	s_or_b64 exec, exec, s[28:29]
	v_add_u32_e32 v6, 0x80000001, v10
	v_min_u32_e32 v6, v6, v10
	v_add_u32_e32 v7, 0x80000001, v6
	v_min_u32_e32 v8, v7, v6
.LBB31_879:
	s_or_b64 exec, exec, s[20:21]
	v_mov_b32_e32 v7, 0
	s_movk_i32 s28, 0x1388
	s_mov_b32 s29, 0xbc8f1391
	s_mov_b32 s40, 0xbc8f
	s_brev_b32 s41, 12
	s_mov_b32 s42, 0xf800000
	v_mov_b32_e32 v6, 0x260
.LBB31_880:                             ; =>This Inner Loop Header: Depth=1
	v_mul_hi_u32 v9, v8, s29
	v_add_f32_e32 v10, 1.0, v7
	s_add_i32 s28, s28, -2
	s_cmp_lg_u32 s28, 0
	v_lshrrev_b32_e32 v9, 15, v9
	v_mul_u32_u24_e32 v11, 0xadc8, v9
	v_sub_u32_e32 v8, v8, v11
	v_mul_lo_u32 v8, v8, s40
	v_mul_u32_u24_e32 v9, 0xd47, v9
	v_xor_b32_e32 v11, 0x7fffffff, v9
	v_sub_u32_e32 v15, 0, v9
	v_cmp_lt_u32_e32 vcc, v8, v9
	v_cndmask_b32_e32 v9, v15, v11, vcc
	v_add_u32_e32 v8, v9, v8
	v_mul_hi_u32 v11, v8, s29
	v_add_u32_e32 v9, -1, v8
	v_cvt_f32_u32_e32 v9, v9
	v_lshrrev_b32_e32 v11, 15, v11
	v_mul_u32_u24_e32 v15, 0xadc8, v11
	v_sub_u32_e32 v8, v8, v15
	v_mul_lo_u32 v8, v8, s40
	v_mul_u32_u24_e32 v11, 0xd47, v11
	v_xor_b32_e32 v15, 0x7fffffff, v11
	v_sub_u32_e32 v23, 0, v11
	v_cmp_lt_u32_e32 vcc, v8, v11
	v_cndmask_b32_e32 v11, v23, v15, vcc
	v_add_u32_e32 v8, v11, v8
	v_mul_hi_u32 v15, v8, s29
	v_add_u32_e32 v11, -1, v8
	v_cvt_f32_u32_e32 v11, v11
	v_fma_f32 v9, v9, s41, 0
	v_lshrrev_b32_e32 v15, 15, v15
	v_mul_u32_u24_e32 v23, 0xadc8, v15
	v_fma_f32 v11, v11, s41, 0
	v_sub_u32_e32 v8, v8, v23
	v_mul_f32_e32 v11, v11, v11
	v_mul_lo_u32 v8, v8, s40
	v_fmac_f32_e32 v11, v9, v9
	v_mul_f32_e32 v9, 0x4f800000, v11
	v_cmp_gt_f32_e32 vcc, s42, v11
	v_mul_u32_u24_e32 v15, 0xd47, v15
	v_cndmask_b32_e32 v9, v11, v9, vcc
	v_xor_b32_e32 v23, 0x7fffffff, v15
	v_sub_u32_e32 v24, 0, v15
	v_sqrt_f32_e32 v11, v9
	v_cmp_lt_u32_e64 s[20:21], v8, v15
	v_cndmask_b32_e64 v15, v24, v23, s[20:21]
	v_add_u32_e32 v8, v15, v8
	v_mul_hi_u32 v23, v8, s29
	v_add_u32_e32 v24, -1, v11
	v_add_u32_e32 v25, 1, v11
	v_fma_f32 v26, -v24, v11, v9
	v_fma_f32 v27, -v25, v11, v9
	v_cmp_ge_f32_e64 s[20:21], 0, v26
	v_cndmask_b32_e64 v11, v11, v24, s[20:21]
	v_cmp_lt_f32_e64 s[20:21], 0, v27
	v_lshrrev_b32_e32 v23, 15, v23
	v_cndmask_b32_e64 v11, v11, v25, s[20:21]
	v_mul_u32_u24_e32 v25, 0xadc8, v23
	v_add_u32_e32 v15, -1, v8
	v_sub_u32_e32 v8, v8, v25
	v_mul_f32_e32 v24, 0x37800000, v11
	v_mul_lo_u32 v8, v8, s40
	v_cndmask_b32_e32 v11, v11, v24, vcc
	v_cmp_class_f32_e32 vcc, v9, v6
	v_cndmask_b32_e32 v9, v11, v9, vcc
	v_mul_u32_u24_e32 v23, 0xd47, v23
	v_cmp_nge_f32_e32 vcc, 1.0, v9
	v_xor_b32_e32 v24, 0x7fffffff, v23
	v_sub_u32_e32 v25, 0, v23
	v_cndmask_b32_e32 v7, v10, v7, vcc
	v_cmp_lt_u32_e32 vcc, v8, v23
	v_cndmask_b32_e32 v10, v25, v24, vcc
	v_add_u32_e32 v8, v10, v8
	v_add_u32_e32 v10, -1, v8
	v_cvt_f32_u32_e32 v10, v10
	v_cvt_f32_u32_e32 v15, v15
	v_add_f32_e32 v9, 1.0, v7
	v_fma_f32 v10, v10, s41, 0
	v_fma_f32 v15, v15, s41, 0
	v_mul_f32_e32 v10, v10, v10
	v_fmac_f32_e32 v10, v15, v15
	v_mul_f32_e32 v11, 0x4f800000, v10
	v_cmp_gt_f32_e32 vcc, s42, v10
	v_cndmask_b32_e32 v10, v10, v11, vcc
	v_sqrt_f32_e32 v11, v10
	v_add_u32_e32 v15, -1, v11
	v_add_u32_e32 v23, 1, v11
	v_fma_f32 v24, -v15, v11, v10
	v_fma_f32 v25, -v23, v11, v10
	v_cmp_ge_f32_e64 s[20:21], 0, v24
	v_cndmask_b32_e64 v11, v11, v15, s[20:21]
	v_cmp_lt_f32_e64 s[20:21], 0, v25
	v_cndmask_b32_e64 v11, v11, v23, s[20:21]
	v_mul_f32_e32 v15, 0x37800000, v11
	v_cndmask_b32_e32 v11, v11, v15, vcc
	v_cmp_class_f32_e32 vcc, v10, v6
	v_cndmask_b32_e32 v10, v11, v10, vcc
	v_cmp_nge_f32_e32 vcc, 1.0, v10
	v_cndmask_b32_e32 v7, v9, v7, vcc
	s_cbranch_scc1 .LBB31_880
; %bb.881:
	v_mul_f32_e32 v6, 4.0, v7
	s_mov_b32 s28, 0x459c4000
	v_div_scale_f32 v7, s[20:21], s28, s28, v6
	v_div_scale_f32 v8, vcc, v6, s28, v6
	v_rcp_f32_e32 v9, v7
	v_fma_f32 v10, -v7, v9, 1.0
	v_fmac_f32_e32 v9, v10, v9
	v_mul_f32_e32 v10, v8, v9
	v_fma_f32 v11, -v7, v10, v8
	v_fmac_f32_e32 v10, v11, v9
	v_fma_f32 v7, -v7, v10, v8
	v_div_fmas_f32 v7, v7, v9, v10
	v_div_fixup_f32 v23, v7, s28, v6
.LBB31_882:
	s_or_b64 exec, exec, s[26:27]
	v_add_f32_e32 v6, v16, v17
	v_cndmask_b32_e64 v6, v16, v6, s[4:5]
	v_add_f32_e32 v7, v18, v6
	v_cndmask_b32_e64 v6, v6, v7, s[6:7]
	;; [unrolled: 2-line block ×7, first 2 shown]
	v_mbcnt_lo_u32_b32 v6, -1, 0
	v_mbcnt_hi_u32_b32 v6, -1, v6
	v_and_b32_e32 v10, 63, v6
	v_cmp_ne_u32_e32 vcc, 63, v10
	v_addc_co_u32_e32 v8, vcc, 0, v6, vcc
	v_lshlrev_b32_e32 v8, 2, v8
	ds_bpermute_b32 v9, v8, v7
	v_min_u32_e32 v8, 0x100, v12
	v_and_b32_e32 v11, 0x3c0, v14
	v_sub_u32_e64 v11, v8, v11 clamp
	v_add_u32_e32 v12, 1, v10
	v_cmp_gt_u32_e64 s[4:5], 62, v10
	s_waitcnt lgkmcnt(0)
	v_add_f32_e32 v9, v7, v9
	v_cmp_lt_u32_e32 vcc, v12, v11
	v_cndmask_b32_e64 v12, 0, 2, s[4:5]
	v_cndmask_b32_e32 v9, v7, v9, vcc
	v_add_lshl_u32 v12, v12, v6, 2
	ds_bpermute_b32 v12, v12, v9
	v_add_u32_e32 v15, 2, v10
	v_cmp_lt_u32_e64 s[4:5], v15, v11
	v_add_u32_e32 v15, 4, v10
	s_waitcnt lgkmcnt(0)
	v_add_f32_e32 v12, v9, v12
	v_cndmask_b32_e64 v9, v9, v12, s[4:5]
	v_cmp_gt_u32_e64 s[4:5], 60, v10
	v_cndmask_b32_e64 v12, 0, 4, s[4:5]
	v_add_lshl_u32 v12, v12, v6, 2
	ds_bpermute_b32 v12, v12, v9
	v_cmp_lt_u32_e64 s[4:5], v15, v11
	v_add_u32_e32 v15, 8, v10
	s_waitcnt lgkmcnt(0)
	v_add_f32_e32 v12, v9, v12
	v_cndmask_b32_e64 v9, v9, v12, s[4:5]
	v_cmp_gt_u32_e64 s[4:5], 56, v10
	v_cndmask_b32_e64 v12, 0, 8, s[4:5]
	v_add_lshl_u32 v12, v12, v6, 2
	ds_bpermute_b32 v12, v12, v9
	;; [unrolled: 9-line block ×3, first 2 shown]
	v_cmp_lt_u32_e64 s[4:5], v15, v11
	v_add_u32_e32 v10, 32, v10
	s_waitcnt lgkmcnt(0)
	v_add_f32_e32 v12, v9, v12
	v_cndmask_b32_e64 v12, v9, v12, s[4:5]
	v_lshlrev_b32_e32 v9, 2, v6
	v_or_b32_e32 v15, 0x80, v9
	ds_bpermute_b32 v15, v15, v12
	v_cmp_lt_u32_e64 s[4:5], v10, v11
	s_waitcnt lgkmcnt(0)
	v_add_f32_e32 v15, v12, v15
	v_cndmask_b32_e64 v10, v12, v15, s[4:5]
	v_cndmask_b32_e32 v7, v7, v10, vcc
	v_cmp_eq_u32_e32 vcc, 0, v6
	s_and_saveexec_b64 s[4:5], vcc
; %bb.883:
	v_lshrrev_b32_e32 v10, 4, v14
	v_and_b32_e32 v10, 60, v10
	ds_write_b32 v10, v7 offset:96
; %bb.884:
	s_or_b64 exec, exec, s[4:5]
	v_cmp_gt_u32_e32 vcc, 4, v14
	s_waitcnt lgkmcnt(0)
	s_barrier
	s_and_saveexec_b64 s[6:7], vcc
	s_cbranch_execz .LBB31_886
; %bb.885:
	ds_read_b32 v7, v9 offset:96
	v_and_b32_e32 v10, 3, v6
	v_cmp_ne_u32_e32 vcc, 3, v10
	v_addc_co_u32_e32 v6, vcc, 0, v6, vcc
	v_lshlrev_b32_e32 v6, 2, v6
	s_waitcnt lgkmcnt(0)
	ds_bpermute_b32 v6, v6, v7
	v_add_u32_e32 v8, 63, v8
	v_lshrrev_b32_e32 v8, 6, v8
	v_add_u32_e32 v11, 1, v10
	v_cmp_lt_u32_e32 vcc, v11, v8
	s_waitcnt lgkmcnt(0)
	v_add_f32_e32 v6, v7, v6
	v_cndmask_b32_e32 v6, v7, v6, vcc
	v_or_b32_e32 v9, 8, v9
	ds_bpermute_b32 v9, v9, v6
	v_add_u32_e32 v10, 2, v10
	v_cmp_lt_u32_e64 s[4:5], v10, v8
	s_waitcnt lgkmcnt(0)
	v_add_f32_e32 v9, v6, v9
	v_cndmask_b32_e64 v6, v6, v9, s[4:5]
	v_cndmask_b32_e32 v7, v7, v6, vcc
.LBB31_886:
	s_or_b64 exec, exec, s[6:7]
	s_or_b64 exec, exec, s[24:25]
	v_cmp_eq_u32_e32 vcc, 0, v14
	s_and_b64 exec, exec, vcc
	s_cbranch_execnz .LBB31_19
	s_branch .LBB31_20
.LBB31_887:
	s_or_b64 exec, exec, s[24:25]
	v_add_u32_e32 v6, 0x80000001, v10
	v_min_u32_e32 v6, v6, v10
	v_add_u32_e32 v7, 0x80000001, v6
	v_min_u32_e32 v8, v7, v6
.LBB31_888:
	s_or_b64 exec, exec, s[20:21]
	v_mov_b32_e32 v7, 0
	s_movk_i32 s24, 0x1388
	s_mov_b32 s25, 0xbc8f1391
	s_mov_b32 s26, 0xbc8f
	s_brev_b32 s27, 12
	s_mov_b32 s28, 0xf800000
	v_mov_b32_e32 v6, 0x260
.LBB31_889:                             ; =>This Inner Loop Header: Depth=1
	v_mul_hi_u32 v9, v8, s25
	v_add_f32_e32 v10, 1.0, v7
	s_add_i32 s24, s24, -2
	s_cmp_lg_u32 s24, 0
	v_lshrrev_b32_e32 v9, 15, v9
	v_mul_u32_u24_e32 v11, 0xadc8, v9
	v_sub_u32_e32 v8, v8, v11
	v_mul_lo_u32 v8, v8, s26
	v_mul_u32_u24_e32 v9, 0xd47, v9
	v_xor_b32_e32 v11, 0x7fffffff, v9
	v_sub_u32_e32 v23, 0, v9
	v_cmp_lt_u32_e32 vcc, v8, v9
	v_cndmask_b32_e32 v9, v23, v11, vcc
	v_add_u32_e32 v8, v9, v8
	v_mul_hi_u32 v11, v8, s25
	v_add_u32_e32 v9, -1, v8
	v_cvt_f32_u32_e32 v9, v9
	v_lshrrev_b32_e32 v11, 15, v11
	v_mul_u32_u24_e32 v23, 0xadc8, v11
	v_sub_u32_e32 v8, v8, v23
	v_mul_lo_u32 v8, v8, s26
	v_mul_u32_u24_e32 v11, 0xd47, v11
	v_xor_b32_e32 v23, 0x7fffffff, v11
	v_sub_u32_e32 v33, 0, v11
	v_cmp_lt_u32_e32 vcc, v8, v11
	v_cndmask_b32_e32 v11, v33, v23, vcc
	v_add_u32_e32 v8, v11, v8
	v_mul_hi_u32 v23, v8, s25
	v_add_u32_e32 v11, -1, v8
	v_cvt_f32_u32_e32 v11, v11
	v_fma_f32 v9, v9, s27, 0
	v_lshrrev_b32_e32 v23, 15, v23
	v_mul_u32_u24_e32 v33, 0xadc8, v23
	v_fma_f32 v11, v11, s27, 0
	v_sub_u32_e32 v8, v8, v33
	v_mul_f32_e32 v11, v11, v11
	v_mul_lo_u32 v8, v8, s26
	v_fmac_f32_e32 v11, v9, v9
	v_mul_f32_e32 v9, 0x4f800000, v11
	v_cmp_gt_f32_e32 vcc, s28, v11
	v_mul_u32_u24_e32 v23, 0xd47, v23
	v_cndmask_b32_e32 v9, v11, v9, vcc
	v_xor_b32_e32 v33, 0x7fffffff, v23
	v_sub_u32_e32 v34, 0, v23
	v_sqrt_f32_e32 v11, v9
	v_cmp_lt_u32_e64 s[20:21], v8, v23
	v_cndmask_b32_e64 v23, v34, v33, s[20:21]
	v_add_u32_e32 v8, v23, v8
	v_mul_hi_u32 v33, v8, s25
	v_add_u32_e32 v34, -1, v11
	v_add_u32_e32 v35, 1, v11
	v_fma_f32 v36, -v34, v11, v9
	v_fma_f32 v37, -v35, v11, v9
	v_cmp_ge_f32_e64 s[20:21], 0, v36
	v_cndmask_b32_e64 v11, v11, v34, s[20:21]
	v_cmp_lt_f32_e64 s[20:21], 0, v37
	v_lshrrev_b32_e32 v33, 15, v33
	v_cndmask_b32_e64 v11, v11, v35, s[20:21]
	v_mul_u32_u24_e32 v35, 0xadc8, v33
	v_add_u32_e32 v23, -1, v8
	v_sub_u32_e32 v8, v8, v35
	v_mul_f32_e32 v34, 0x37800000, v11
	v_mul_lo_u32 v8, v8, s26
	v_cndmask_b32_e32 v11, v11, v34, vcc
	v_cmp_class_f32_e32 vcc, v9, v6
	v_cndmask_b32_e32 v9, v11, v9, vcc
	v_mul_u32_u24_e32 v33, 0xd47, v33
	v_cmp_nge_f32_e32 vcc, 1.0, v9
	v_xor_b32_e32 v34, 0x7fffffff, v33
	v_sub_u32_e32 v35, 0, v33
	v_cndmask_b32_e32 v7, v10, v7, vcc
	v_cmp_lt_u32_e32 vcc, v8, v33
	v_cndmask_b32_e32 v10, v35, v34, vcc
	v_add_u32_e32 v8, v10, v8
	v_add_u32_e32 v10, -1, v8
	v_cvt_f32_u32_e32 v10, v10
	v_cvt_f32_u32_e32 v23, v23
	v_add_f32_e32 v9, 1.0, v7
	v_fma_f32 v10, v10, s27, 0
	v_fma_f32 v23, v23, s27, 0
	v_mul_f32_e32 v10, v10, v10
	v_fmac_f32_e32 v10, v23, v23
	v_mul_f32_e32 v11, 0x4f800000, v10
	v_cmp_gt_f32_e32 vcc, s28, v10
	v_cndmask_b32_e32 v10, v10, v11, vcc
	v_sqrt_f32_e32 v11, v10
	v_add_u32_e32 v23, -1, v11
	v_add_u32_e32 v33, 1, v11
	v_fma_f32 v34, -v23, v11, v10
	v_fma_f32 v35, -v33, v11, v10
	v_cmp_ge_f32_e64 s[20:21], 0, v34
	v_cndmask_b32_e64 v11, v11, v23, s[20:21]
	v_cmp_lt_f32_e64 s[20:21], 0, v35
	v_cndmask_b32_e64 v11, v11, v33, s[20:21]
	v_mul_f32_e32 v23, 0x37800000, v11
	v_cndmask_b32_e32 v11, v11, v23, vcc
	v_cmp_class_f32_e32 vcc, v10, v6
	v_cndmask_b32_e32 v10, v11, v10, vcc
	v_cmp_nge_f32_e32 vcc, 1.0, v10
	v_cndmask_b32_e32 v7, v9, v7, vcc
	s_cbranch_scc1 .LBB31_889
; %bb.890:
	v_mul_f32_e32 v6, 4.0, v7
	s_mov_b32 s24, 0x459c4000
	v_div_scale_f32 v7, s[20:21], s24, s24, v6
	v_div_scale_f32 v8, vcc, v6, s24, v6
	v_rcp_f32_e32 v9, v7
	v_fma_f32 v10, -v7, v9, 1.0
	v_fmac_f32_e32 v9, v10, v9
	v_mul_f32_e32 v10, v8, v9
	v_fma_f32 v11, -v7, v10, v8
	v_fmac_f32_e32 v10, v11, v9
	v_fma_f32 v7, -v7, v10, v8
	v_div_fmas_f32 v7, v7, v9, v10
	v_div_fixup_f32 v23, v7, s24, v6
.LBB31_891:
	s_or_b64 exec, exec, s[22:23]
	v_or_b32_e32 v6, 0x800, v14
	v_cmp_lt_u32_e64 s[20:21], v6, v12
	s_and_saveexec_b64 s[24:25], s[20:21]
	s_cbranch_execz .LBB31_911
; %bb.892:
	v_add_u32_e32 v6, v15, v6
	s_movk_i32 s22, 0x1388
	v_mul_lo_u32 v6, v6, s22
	v_mov_b32_e32 v8, 1
	v_cmp_ne_u32_e32 vcc, 0, v6
	s_and_saveexec_b64 s[22:23], vcc
	s_cbranch_execz .LBB31_908
; %bb.893:
	v_mov_b32_e32 v7, 0
	v_mov_b32_e32 v10, 1
	;; [unrolled: 1-line block ×3, first 2 shown]
	s_mov_b64 s[28:29], 0xbc8f
	v_mov_b32_e32 v11, 0
	s_mov_b64 s[26:27], 0
	s_brev_b32 s42, -2
	v_mov_b32_e32 v8, v6
	s_branch .LBB31_895
.LBB31_894:                             ;   in Loop: Header=BB31_895 Depth=1
	s_or_b64 exec, exec, s[40:41]
	s_mul_i32 s29, s28, s29
	s_mul_hi_u32 s40, s28, s28
	s_add_i32 s40, s40, s29
	s_add_i32 s40, s40, s29
	s_mul_i32 s41, s28, s28
	s_mul_i32 s29, s40, 3
	s_mul_hi_u32 s43, s41, 3
	s_mul_hi_u32 s28, s40, 3
	s_add_u32 s29, s29, s43
	s_addc_u32 s28, s28, 0
	s_mul_i32 s44, s41, 0x80000001
	s_mul_hi_u32 s43, s41, 0x80000001
	s_add_u32 s29, s44, s29
	s_addc_u32 s29, s43, 0
	s_add_u32 s28, s28, s29
	s_addc_u32 s29, 0, 0
	s_mul_i32 s44, s40, 0x80000001
	s_mul_hi_u32 s43, s40, 0x80000001
	s_add_u32 s28, s44, s28
	s_addc_u32 s29, s43, s29
	s_lshr_b32 s43, s29, 30
	s_lshr_b64 s[28:29], s[28:29], 30
	s_mul_i32 s43, s43, 0x7fffffff
	s_mul_hi_u32 s29, s28, 0x7fffffff
	v_lshrrev_b64 v[33:34], 1, v[8:9]
	s_add_i32 s29, s29, s43
	s_mul_i32 s28, s28, 0x7fffffff
	s_sub_u32 s28, s41, s28
	v_cmp_gt_u64_e32 vcc, 2, v[8:9]
	s_subb_u32 s29, s40, s29
	v_mov_b32_e32 v8, v33
	s_or_b64 s[26:27], vcc, s[26:27]
	v_mov_b32_e32 v9, v34
	s_andn2_b64 exec, exec, s[26:27]
	s_cbranch_execz .LBB31_907
.LBB31_895:                             ; =>This Inner Loop Header: Depth=1
	v_and_b32_e32 v6, 1, v8
	v_cmp_eq_u32_e32 vcc, 1, v6
	s_and_saveexec_b64 s[40:41], vcc
	s_cbranch_execz .LBB31_894
; %bb.896:                              ;   in Loop: Header=BB31_895 Depth=1
	v_mad_u64_u32 v[33:34], s[44:45], s28, v10, 0
	v_mul_lo_u32 v10, s29, v10
	v_mul_lo_u32 v11, s28, v11
	v_mul_hi_u32 v6, v33, 5
	v_add3_u32 v24, v34, v11, v10
	v_mad_u64_u32 v[10:11], s[44:45], v24, 5, v[6:7]
	v_mov_b32_e32 v6, v10
	v_mad_u64_u32 v[34:35], s[44:45], v33, 2, v[6:7]
	v_add_co_u32_e32 v10, vcc, v11, v35
	v_addc_co_u32_e64 v11, s[44:45], 0, 0, vcc
	v_mad_u64_u32 v[10:11], s[44:45], v24, 2, v[10:11]
	v_sub_co_u32_e32 v34, vcc, v33, v10
	v_subb_co_u32_e32 v35, vcc, v24, v11, vcc
	v_lshrrev_b64 v[34:35], 1, v[34:35]
	v_add_co_u32_e32 v6, vcc, v34, v10
	v_addc_co_u32_e32 v34, vcc, v35, v11, vcc
	v_alignbit_b32 v6, v34, v6, 30
	v_mad_u64_u32 v[10:11], s[44:45], v6, s42, 0
	v_lshrrev_b32_e32 v34, 30, v34
	v_mov_b32_e32 v6, v11
	v_mad_u64_u32 v[34:35], s[44:45], v34, s42, v[6:7]
	v_sub_co_u32_e32 v10, vcc, v33, v10
	v_subb_co_u32_e32 v11, vcc, v24, v34, vcc
	s_branch .LBB31_894
.LBB31_897:
	s_or_b64 exec, exec, s[24:25]
	v_add_u32_e32 v4, 0x80000001, v8
	v_min_u32_e32 v4, v4, v8
	v_add_u32_e32 v5, 0x80000001, v4
	v_min_u32_e32 v6, v5, v4
.LBB31_898:
	s_or_b64 exec, exec, s[20:21]
	v_mov_b32_e32 v5, 0
	s_movk_i32 s24, 0x1388
	s_mov_b32 s25, 0xbc8f1391
	s_mov_b32 s26, 0xbc8f
	s_brev_b32 s27, 12
	s_mov_b32 s28, 0xf800000
	v_mov_b32_e32 v4, 0x260
.LBB31_899:                             ; =>This Inner Loop Header: Depth=1
	v_mul_hi_u32 v7, v6, s25
	v_add_f32_e32 v8, 1.0, v5
	s_add_i32 s24, s24, -2
	s_cmp_lg_u32 s24, 0
	v_lshrrev_b32_e32 v7, 15, v7
	v_mul_u32_u24_e32 v9, 0xadc8, v7
	v_sub_u32_e32 v6, v6, v9
	v_mul_lo_u32 v6, v6, s26
	v_mul_u32_u24_e32 v7, 0xd47, v7
	v_xor_b32_e32 v9, 0x7fffffff, v7
	v_sub_u32_e32 v21, 0, v7
	v_cmp_lt_u32_e32 vcc, v6, v7
	v_cndmask_b32_e32 v7, v21, v9, vcc
	v_add_u32_e32 v6, v7, v6
	v_mul_hi_u32 v9, v6, s25
	v_add_u32_e32 v7, -1, v6
	v_cvt_f32_u32_e32 v7, v7
	v_lshrrev_b32_e32 v9, 15, v9
	v_mul_u32_u24_e32 v21, 0xadc8, v9
	v_sub_u32_e32 v6, v6, v21
	v_mul_lo_u32 v6, v6, s26
	v_mul_u32_u24_e32 v9, 0xd47, v9
	v_xor_b32_e32 v21, 0x7fffffff, v9
	v_sub_u32_e32 v22, 0, v9
	v_cmp_lt_u32_e32 vcc, v6, v9
	v_cndmask_b32_e32 v9, v22, v21, vcc
	v_add_u32_e32 v6, v9, v6
	v_mul_hi_u32 v21, v6, s25
	v_add_u32_e32 v9, -1, v6
	v_cvt_f32_u32_e32 v9, v9
	v_fma_f32 v7, v7, s27, 0
	v_lshrrev_b32_e32 v21, 15, v21
	v_mul_u32_u24_e32 v22, 0xadc8, v21
	v_fma_f32 v9, v9, s27, 0
	v_sub_u32_e32 v6, v6, v22
	v_mul_f32_e32 v9, v9, v9
	v_mul_lo_u32 v6, v6, s26
	v_fmac_f32_e32 v9, v7, v7
	v_mul_f32_e32 v7, 0x4f800000, v9
	v_cmp_gt_f32_e32 vcc, s28, v9
	v_mul_u32_u24_e32 v21, 0xd47, v21
	v_cndmask_b32_e32 v7, v9, v7, vcc
	v_xor_b32_e32 v22, 0x7fffffff, v21
	v_sub_u32_e32 v23, 0, v21
	v_sqrt_f32_e32 v9, v7
	v_cmp_lt_u32_e64 s[20:21], v6, v21
	v_cndmask_b32_e64 v21, v23, v22, s[20:21]
	v_add_u32_e32 v6, v21, v6
	v_mul_hi_u32 v22, v6, s25
	v_add_u32_e32 v23, -1, v9
	v_add_u32_e32 v24, 1, v9
	v_fma_f32 v25, -v23, v9, v7
	v_fma_f32 v26, -v24, v9, v7
	v_cmp_ge_f32_e64 s[20:21], 0, v25
	v_cndmask_b32_e64 v9, v9, v23, s[20:21]
	v_cmp_lt_f32_e64 s[20:21], 0, v26
	v_lshrrev_b32_e32 v22, 15, v22
	v_cndmask_b32_e64 v9, v9, v24, s[20:21]
	v_mul_u32_u24_e32 v24, 0xadc8, v22
	v_add_u32_e32 v21, -1, v6
	v_sub_u32_e32 v6, v6, v24
	v_mul_f32_e32 v23, 0x37800000, v9
	v_mul_lo_u32 v6, v6, s26
	v_cndmask_b32_e32 v9, v9, v23, vcc
	v_cmp_class_f32_e32 vcc, v7, v4
	v_cndmask_b32_e32 v7, v9, v7, vcc
	v_mul_u32_u24_e32 v22, 0xd47, v22
	v_cmp_nge_f32_e32 vcc, 1.0, v7
	v_xor_b32_e32 v23, 0x7fffffff, v22
	v_sub_u32_e32 v24, 0, v22
	v_cndmask_b32_e32 v5, v8, v5, vcc
	v_cmp_lt_u32_e32 vcc, v6, v22
	v_cndmask_b32_e32 v8, v24, v23, vcc
	v_add_u32_e32 v6, v8, v6
	v_add_u32_e32 v8, -1, v6
	v_cvt_f32_u32_e32 v8, v8
	v_cvt_f32_u32_e32 v21, v21
	v_add_f32_e32 v7, 1.0, v5
	v_fma_f32 v8, v8, s27, 0
	v_fma_f32 v21, v21, s27, 0
	v_mul_f32_e32 v8, v8, v8
	v_fmac_f32_e32 v8, v21, v21
	v_mul_f32_e32 v9, 0x4f800000, v8
	v_cmp_gt_f32_e32 vcc, s28, v8
	v_cndmask_b32_e32 v8, v8, v9, vcc
	v_sqrt_f32_e32 v9, v8
	v_add_u32_e32 v21, -1, v9
	v_add_u32_e32 v22, 1, v9
	v_fma_f32 v23, -v21, v9, v8
	v_fma_f32 v24, -v22, v9, v8
	v_cmp_ge_f32_e64 s[20:21], 0, v23
	v_cndmask_b32_e64 v9, v9, v21, s[20:21]
	v_cmp_lt_f32_e64 s[20:21], 0, v24
	v_cndmask_b32_e64 v9, v9, v22, s[20:21]
	v_mul_f32_e32 v21, 0x37800000, v9
	v_cndmask_b32_e32 v9, v9, v21, vcc
	v_cmp_class_f32_e32 vcc, v8, v4
	v_cndmask_b32_e32 v8, v9, v8, vcc
	v_cmp_nge_f32_e32 vcc, 1.0, v8
	v_cndmask_b32_e32 v5, v7, v5, vcc
	s_cbranch_scc1 .LBB31_899
; %bb.900:
	v_mul_f32_e32 v4, 4.0, v5
	s_mov_b32 s24, 0x459c4000
	v_div_scale_f32 v5, s[20:21], s24, s24, v4
	v_div_scale_f32 v6, vcc, v4, s24, v4
	v_rcp_f32_e32 v7, v5
	v_fma_f32 v8, -v5, v7, 1.0
	v_fmac_f32_e32 v7, v8, v7
	v_mul_f32_e32 v8, v6, v7
	v_fma_f32 v9, -v5, v8, v6
	v_fmac_f32_e32 v8, v9, v7
	v_fma_f32 v5, -v5, v8, v6
	v_div_fmas_f32 v5, v5, v7, v8
	v_div_fixup_f32 v21, v5, s24, v4
.LBB31_901:
	s_or_b64 exec, exec, s[22:23]
	v_or_b32_e32 v4, 0x800, v12
	v_cmp_lt_u32_e64 s[20:21], v4, v10
                                        ; implicit-def: $vgpr22
	s_and_saveexec_b64 s[24:25], s[20:21]
	s_cbranch_execz .LBB31_921
; %bb.902:
	v_add_u32_e32 v4, v13, v4
	s_movk_i32 s22, 0x1388
	v_mul_lo_u32 v4, v4, s22
	v_mov_b32_e32 v6, 1
	v_cmp_ne_u32_e32 vcc, 0, v4
	s_and_saveexec_b64 s[22:23], vcc
	s_cbranch_execz .LBB31_918
; %bb.903:
	v_mov_b32_e32 v5, 0
	v_mov_b32_e32 v8, 1
	;; [unrolled: 1-line block ×3, first 2 shown]
	s_mov_b64 s[28:29], 0xbc8f
	v_mov_b32_e32 v9, 0
	s_mov_b64 s[26:27], 0
	s_brev_b32 s42, -2
	v_mov_b32_e32 v6, v4
	s_branch .LBB31_905
.LBB31_904:                             ;   in Loop: Header=BB31_905 Depth=1
	s_or_b64 exec, exec, s[40:41]
	s_mul_i32 s29, s28, s29
	s_mul_hi_u32 s40, s28, s28
	s_add_i32 s40, s40, s29
	s_add_i32 s40, s40, s29
	s_mul_i32 s41, s28, s28
	s_mul_i32 s29, s40, 3
	s_mul_hi_u32 s43, s41, 3
	s_mul_hi_u32 s28, s40, 3
	s_add_u32 s29, s29, s43
	s_addc_u32 s28, s28, 0
	s_mul_i32 s44, s41, 0x80000001
	s_mul_hi_u32 s43, s41, 0x80000001
	s_add_u32 s29, s44, s29
	s_addc_u32 s29, s43, 0
	s_add_u32 s28, s28, s29
	s_addc_u32 s29, 0, 0
	s_mul_i32 s44, s40, 0x80000001
	s_mul_hi_u32 s43, s40, 0x80000001
	s_add_u32 s28, s44, s28
	s_addc_u32 s29, s43, s29
	s_lshr_b32 s43, s29, 30
	s_lshr_b64 s[28:29], s[28:29], 30
	s_mul_i32 s43, s43, 0x7fffffff
	s_mul_hi_u32 s29, s28, 0x7fffffff
	v_lshrrev_b64 v[22:23], 1, v[6:7]
	s_add_i32 s29, s29, s43
	s_mul_i32 s28, s28, 0x7fffffff
	s_sub_u32 s28, s41, s28
	v_cmp_gt_u64_e32 vcc, 2, v[6:7]
	s_subb_u32 s29, s40, s29
	v_mov_b32_e32 v6, v22
	s_or_b64 s[26:27], vcc, s[26:27]
	v_mov_b32_e32 v7, v23
	s_andn2_b64 exec, exec, s[26:27]
	s_cbranch_execz .LBB31_917
.LBB31_905:                             ; =>This Inner Loop Header: Depth=1
	v_and_b32_e32 v4, 1, v6
	v_cmp_eq_u32_e32 vcc, 1, v4
	s_and_saveexec_b64 s[40:41], vcc
	s_cbranch_execz .LBB31_904
; %bb.906:                              ;   in Loop: Header=BB31_905 Depth=1
	v_mad_u64_u32 v[22:23], s[44:45], s28, v8, 0
	v_mul_lo_u32 v8, s29, v8
	v_mul_lo_u32 v9, s28, v9
	v_mul_hi_u32 v4, v22, 5
	v_add3_u32 v25, v23, v9, v8
	v_mad_u64_u32 v[8:9], s[44:45], v25, 5, v[4:5]
	v_mov_b32_e32 v4, v8
	v_mad_u64_u32 v[23:24], s[44:45], v22, 2, v[4:5]
	v_add_co_u32_e32 v8, vcc, v9, v24
	v_addc_co_u32_e64 v9, s[44:45], 0, 0, vcc
	v_mad_u64_u32 v[8:9], s[44:45], v25, 2, v[8:9]
	v_sub_co_u32_e32 v23, vcc, v22, v8
	v_subb_co_u32_e32 v24, vcc, v25, v9, vcc
	v_lshrrev_b64 v[23:24], 1, v[23:24]
	v_add_co_u32_e32 v4, vcc, v23, v8
	v_addc_co_u32_e32 v23, vcc, v24, v9, vcc
	v_alignbit_b32 v4, v23, v4, 30
	v_mad_u64_u32 v[8:9], s[44:45], v4, s42, 0
	v_lshrrev_b32_e32 v23, 30, v23
	v_mov_b32_e32 v4, v9
	v_mad_u64_u32 v[23:24], s[44:45], v23, s42, v[4:5]
	v_sub_co_u32_e32 v8, vcc, v22, v8
	v_subb_co_u32_e32 v9, vcc, v25, v23, vcc
	s_branch .LBB31_904
.LBB31_907:
	s_or_b64 exec, exec, s[26:27]
	v_add_u32_e32 v6, 0x80000001, v10
	v_min_u32_e32 v6, v6, v10
	v_add_u32_e32 v7, 0x80000001, v6
	v_min_u32_e32 v8, v7, v6
.LBB31_908:
	s_or_b64 exec, exec, s[22:23]
	v_mov_b32_e32 v7, 0
	s_movk_i32 s26, 0x1388
	s_mov_b32 s27, 0xbc8f1391
	s_mov_b32 s28, 0xbc8f
	s_brev_b32 s29, 12
	s_mov_b32 s40, 0xf800000
	v_mov_b32_e32 v6, 0x260
.LBB31_909:                             ; =>This Inner Loop Header: Depth=1
	v_mul_hi_u32 v9, v8, s27
	v_add_f32_e32 v10, 1.0, v7
	s_add_i32 s26, s26, -2
	s_cmp_lg_u32 s26, 0
	v_lshrrev_b32_e32 v9, 15, v9
	v_mul_u32_u24_e32 v11, 0xadc8, v9
	v_sub_u32_e32 v8, v8, v11
	v_mul_lo_u32 v8, v8, s28
	v_mul_u32_u24_e32 v9, 0xd47, v9
	v_xor_b32_e32 v11, 0x7fffffff, v9
	v_sub_u32_e32 v24, 0, v9
	v_cmp_lt_u32_e32 vcc, v8, v9
	v_cndmask_b32_e32 v9, v24, v11, vcc
	v_add_u32_e32 v8, v9, v8
	v_mul_hi_u32 v11, v8, s27
	v_add_u32_e32 v9, -1, v8
	v_cvt_f32_u32_e32 v9, v9
	v_lshrrev_b32_e32 v11, 15, v11
	v_mul_u32_u24_e32 v24, 0xadc8, v11
	v_sub_u32_e32 v8, v8, v24
	v_mul_lo_u32 v8, v8, s28
	v_mul_u32_u24_e32 v11, 0xd47, v11
	v_xor_b32_e32 v24, 0x7fffffff, v11
	v_sub_u32_e32 v33, 0, v11
	v_cmp_lt_u32_e32 vcc, v8, v11
	v_cndmask_b32_e32 v11, v33, v24, vcc
	v_add_u32_e32 v8, v11, v8
	v_mul_hi_u32 v24, v8, s27
	v_add_u32_e32 v11, -1, v8
	v_cvt_f32_u32_e32 v11, v11
	v_fma_f32 v9, v9, s29, 0
	v_lshrrev_b32_e32 v24, 15, v24
	v_mul_u32_u24_e32 v33, 0xadc8, v24
	v_fma_f32 v11, v11, s29, 0
	v_sub_u32_e32 v8, v8, v33
	v_mul_f32_e32 v11, v11, v11
	v_mul_lo_u32 v8, v8, s28
	v_fmac_f32_e32 v11, v9, v9
	v_mul_f32_e32 v9, 0x4f800000, v11
	v_cmp_gt_f32_e32 vcc, s40, v11
	v_mul_u32_u24_e32 v24, 0xd47, v24
	v_cndmask_b32_e32 v9, v11, v9, vcc
	v_xor_b32_e32 v33, 0x7fffffff, v24
	v_sub_u32_e32 v34, 0, v24
	v_sqrt_f32_e32 v11, v9
	v_cmp_lt_u32_e64 s[22:23], v8, v24
	v_cndmask_b32_e64 v24, v34, v33, s[22:23]
	v_add_u32_e32 v8, v24, v8
	v_mul_hi_u32 v33, v8, s27
	v_add_u32_e32 v34, -1, v11
	v_add_u32_e32 v35, 1, v11
	v_fma_f32 v36, -v34, v11, v9
	v_fma_f32 v37, -v35, v11, v9
	v_cmp_ge_f32_e64 s[22:23], 0, v36
	v_cndmask_b32_e64 v11, v11, v34, s[22:23]
	v_cmp_lt_f32_e64 s[22:23], 0, v37
	v_lshrrev_b32_e32 v33, 15, v33
	v_cndmask_b32_e64 v11, v11, v35, s[22:23]
	v_mul_u32_u24_e32 v35, 0xadc8, v33
	v_add_u32_e32 v24, -1, v8
	v_sub_u32_e32 v8, v8, v35
	v_mul_f32_e32 v34, 0x37800000, v11
	v_mul_lo_u32 v8, v8, s28
	v_cndmask_b32_e32 v11, v11, v34, vcc
	v_cmp_class_f32_e32 vcc, v9, v6
	v_cndmask_b32_e32 v9, v11, v9, vcc
	v_mul_u32_u24_e32 v33, 0xd47, v33
	v_cmp_nge_f32_e32 vcc, 1.0, v9
	v_xor_b32_e32 v34, 0x7fffffff, v33
	v_sub_u32_e32 v35, 0, v33
	v_cndmask_b32_e32 v7, v10, v7, vcc
	v_cmp_lt_u32_e32 vcc, v8, v33
	v_cndmask_b32_e32 v10, v35, v34, vcc
	v_add_u32_e32 v8, v10, v8
	v_add_u32_e32 v10, -1, v8
	v_cvt_f32_u32_e32 v10, v10
	v_cvt_f32_u32_e32 v24, v24
	v_add_f32_e32 v9, 1.0, v7
	v_fma_f32 v10, v10, s29, 0
	v_fma_f32 v24, v24, s29, 0
	v_mul_f32_e32 v10, v10, v10
	v_fmac_f32_e32 v10, v24, v24
	v_mul_f32_e32 v11, 0x4f800000, v10
	v_cmp_gt_f32_e32 vcc, s40, v10
	v_cndmask_b32_e32 v10, v10, v11, vcc
	v_sqrt_f32_e32 v11, v10
	v_add_u32_e32 v24, -1, v11
	v_add_u32_e32 v33, 1, v11
	v_fma_f32 v34, -v24, v11, v10
	v_fma_f32 v35, -v33, v11, v10
	v_cmp_ge_f32_e64 s[22:23], 0, v34
	v_cndmask_b32_e64 v11, v11, v24, s[22:23]
	v_cmp_lt_f32_e64 s[22:23], 0, v35
	v_cndmask_b32_e64 v11, v11, v33, s[22:23]
	v_mul_f32_e32 v24, 0x37800000, v11
	v_cndmask_b32_e32 v11, v11, v24, vcc
	v_cmp_class_f32_e32 vcc, v10, v6
	v_cndmask_b32_e32 v10, v11, v10, vcc
	v_cmp_nge_f32_e32 vcc, 1.0, v10
	v_cndmask_b32_e32 v7, v9, v7, vcc
	s_cbranch_scc1 .LBB31_909
; %bb.910:
	v_mul_f32_e32 v6, 4.0, v7
	s_mov_b32 s26, 0x459c4000
	v_div_scale_f32 v7, s[22:23], s26, s26, v6
	v_div_scale_f32 v8, vcc, v6, s26, v6
	v_rcp_f32_e32 v9, v7
	v_fma_f32 v10, -v7, v9, 1.0
	v_fmac_f32_e32 v9, v10, v9
	v_mul_f32_e32 v10, v8, v9
	v_fma_f32 v11, -v7, v10, v8
	v_fmac_f32_e32 v10, v11, v9
	v_fma_f32 v7, -v7, v10, v8
	v_div_fmas_f32 v7, v7, v9, v10
	v_div_fixup_f32 v24, v7, s26, v6
.LBB31_911:
	s_or_b64 exec, exec, s[24:25]
	v_add_u32_e32 v6, 0x900, v14
	v_cmp_lt_u32_e64 s[22:23], v6, v12
	s_and_saveexec_b64 s[26:27], s[22:23]
	s_cbranch_execz .LBB31_931
; %bb.912:
	v_add_u32_e32 v6, v15, v6
	s_movk_i32 s24, 0x1388
	v_mul_lo_u32 v6, v6, s24
	v_mov_b32_e32 v8, 1
	v_cmp_ne_u32_e32 vcc, 0, v6
	s_and_saveexec_b64 s[24:25], vcc
	s_cbranch_execz .LBB31_928
; %bb.913:
	v_mov_b32_e32 v7, 0
	v_mov_b32_e32 v10, 1
	;; [unrolled: 1-line block ×3, first 2 shown]
	s_mov_b64 s[40:41], 0xbc8f
	v_mov_b32_e32 v11, 0
	s_mov_b64 s[28:29], 0
	s_brev_b32 s44, -2
	v_mov_b32_e32 v8, v6
	s_branch .LBB31_915
.LBB31_914:                             ;   in Loop: Header=BB31_915 Depth=1
	s_or_b64 exec, exec, s[42:43]
	s_mul_i32 s41, s40, s41
	s_mul_hi_u32 s42, s40, s40
	s_add_i32 s42, s42, s41
	s_add_i32 s42, s42, s41
	s_mul_i32 s43, s40, s40
	s_mul_i32 s41, s42, 3
	s_mul_hi_u32 s45, s43, 3
	s_mul_hi_u32 s40, s42, 3
	s_add_u32 s41, s41, s45
	s_addc_u32 s40, s40, 0
	s_mul_i32 s46, s43, 0x80000001
	s_mul_hi_u32 s45, s43, 0x80000001
	s_add_u32 s41, s46, s41
	s_addc_u32 s41, s45, 0
	s_add_u32 s40, s40, s41
	s_addc_u32 s41, 0, 0
	s_mul_i32 s46, s42, 0x80000001
	s_mul_hi_u32 s45, s42, 0x80000001
	s_add_u32 s40, s46, s40
	s_addc_u32 s41, s45, s41
	s_lshr_b32 s45, s41, 30
	s_lshr_b64 s[40:41], s[40:41], 30
	s_mul_i32 s45, s45, 0x7fffffff
	s_mul_hi_u32 s41, s40, 0x7fffffff
	v_lshrrev_b64 v[33:34], 1, v[8:9]
	s_add_i32 s41, s41, s45
	s_mul_i32 s40, s40, 0x7fffffff
	s_sub_u32 s40, s43, s40
	v_cmp_gt_u64_e32 vcc, 2, v[8:9]
	s_subb_u32 s41, s42, s41
	v_mov_b32_e32 v8, v33
	s_or_b64 s[28:29], vcc, s[28:29]
	v_mov_b32_e32 v9, v34
	s_andn2_b64 exec, exec, s[28:29]
	s_cbranch_execz .LBB31_927
.LBB31_915:                             ; =>This Inner Loop Header: Depth=1
	v_and_b32_e32 v6, 1, v8
	v_cmp_eq_u32_e32 vcc, 1, v6
	s_and_saveexec_b64 s[42:43], vcc
	s_cbranch_execz .LBB31_914
; %bb.916:                              ;   in Loop: Header=BB31_915 Depth=1
	v_mad_u64_u32 v[33:34], s[46:47], s40, v10, 0
	v_mul_lo_u32 v10, s41, v10
	v_mul_lo_u32 v11, s40, v11
	v_mul_hi_u32 v6, v33, 5
	v_add3_u32 v25, v34, v11, v10
	v_mad_u64_u32 v[10:11], s[46:47], v25, 5, v[6:7]
	v_mov_b32_e32 v6, v10
	v_mad_u64_u32 v[34:35], s[46:47], v33, 2, v[6:7]
	v_add_co_u32_e32 v10, vcc, v11, v35
	v_addc_co_u32_e64 v11, s[46:47], 0, 0, vcc
	v_mad_u64_u32 v[10:11], s[46:47], v25, 2, v[10:11]
	v_sub_co_u32_e32 v34, vcc, v33, v10
	v_subb_co_u32_e32 v35, vcc, v25, v11, vcc
	v_lshrrev_b64 v[34:35], 1, v[34:35]
	v_add_co_u32_e32 v6, vcc, v34, v10
	v_addc_co_u32_e32 v34, vcc, v35, v11, vcc
	v_alignbit_b32 v6, v34, v6, 30
	v_mad_u64_u32 v[10:11], s[46:47], v6, s44, 0
	v_lshrrev_b32_e32 v34, 30, v34
	v_mov_b32_e32 v6, v11
	v_mad_u64_u32 v[34:35], s[46:47], v34, s44, v[6:7]
	v_sub_co_u32_e32 v10, vcc, v33, v10
	v_subb_co_u32_e32 v11, vcc, v25, v34, vcc
	s_branch .LBB31_914
.LBB31_917:
	s_or_b64 exec, exec, s[26:27]
	v_add_u32_e32 v4, 0x80000001, v8
	v_min_u32_e32 v4, v4, v8
	v_add_u32_e32 v5, 0x80000001, v4
	v_min_u32_e32 v6, v5, v4
.LBB31_918:
	s_or_b64 exec, exec, s[22:23]
	v_mov_b32_e32 v5, 0
	s_movk_i32 s26, 0x1388
	s_mov_b32 s27, 0xbc8f1391
	s_mov_b32 s28, 0xbc8f
	s_brev_b32 s29, 12
	s_mov_b32 s40, 0xf800000
	v_mov_b32_e32 v4, 0x260
.LBB31_919:                             ; =>This Inner Loop Header: Depth=1
	v_mul_hi_u32 v7, v6, s27
	v_add_f32_e32 v8, 1.0, v5
	s_add_i32 s26, s26, -2
	s_cmp_lg_u32 s26, 0
	v_lshrrev_b32_e32 v7, 15, v7
	v_mul_u32_u24_e32 v9, 0xadc8, v7
	v_sub_u32_e32 v6, v6, v9
	v_mul_lo_u32 v6, v6, s28
	v_mul_u32_u24_e32 v7, 0xd47, v7
	v_xor_b32_e32 v9, 0x7fffffff, v7
	v_sub_u32_e32 v22, 0, v7
	v_cmp_lt_u32_e32 vcc, v6, v7
	v_cndmask_b32_e32 v7, v22, v9, vcc
	v_add_u32_e32 v6, v7, v6
	v_mul_hi_u32 v9, v6, s27
	v_add_u32_e32 v7, -1, v6
	v_cvt_f32_u32_e32 v7, v7
	v_lshrrev_b32_e32 v9, 15, v9
	v_mul_u32_u24_e32 v22, 0xadc8, v9
	v_sub_u32_e32 v6, v6, v22
	v_mul_lo_u32 v6, v6, s28
	v_mul_u32_u24_e32 v9, 0xd47, v9
	v_xor_b32_e32 v22, 0x7fffffff, v9
	v_sub_u32_e32 v23, 0, v9
	v_cmp_lt_u32_e32 vcc, v6, v9
	v_cndmask_b32_e32 v9, v23, v22, vcc
	v_add_u32_e32 v6, v9, v6
	v_mul_hi_u32 v22, v6, s27
	v_add_u32_e32 v9, -1, v6
	v_cvt_f32_u32_e32 v9, v9
	v_fma_f32 v7, v7, s29, 0
	v_lshrrev_b32_e32 v22, 15, v22
	v_mul_u32_u24_e32 v23, 0xadc8, v22
	v_fma_f32 v9, v9, s29, 0
	v_sub_u32_e32 v6, v6, v23
	v_mul_f32_e32 v9, v9, v9
	v_mul_lo_u32 v6, v6, s28
	v_fmac_f32_e32 v9, v7, v7
	v_mul_f32_e32 v7, 0x4f800000, v9
	v_cmp_gt_f32_e32 vcc, s40, v9
	v_mul_u32_u24_e32 v22, 0xd47, v22
	v_cndmask_b32_e32 v7, v9, v7, vcc
	v_xor_b32_e32 v23, 0x7fffffff, v22
	v_sub_u32_e32 v24, 0, v22
	v_sqrt_f32_e32 v9, v7
	v_cmp_lt_u32_e64 s[22:23], v6, v22
	v_cndmask_b32_e64 v22, v24, v23, s[22:23]
	v_add_u32_e32 v6, v22, v6
	v_mul_hi_u32 v23, v6, s27
	v_add_u32_e32 v24, -1, v9
	v_add_u32_e32 v25, 1, v9
	v_fma_f32 v26, -v24, v9, v7
	v_fma_f32 v27, -v25, v9, v7
	v_cmp_ge_f32_e64 s[22:23], 0, v26
	v_cndmask_b32_e64 v9, v9, v24, s[22:23]
	v_cmp_lt_f32_e64 s[22:23], 0, v27
	v_lshrrev_b32_e32 v23, 15, v23
	v_cndmask_b32_e64 v9, v9, v25, s[22:23]
	v_mul_u32_u24_e32 v25, 0xadc8, v23
	v_add_u32_e32 v22, -1, v6
	v_sub_u32_e32 v6, v6, v25
	v_mul_f32_e32 v24, 0x37800000, v9
	v_mul_lo_u32 v6, v6, s28
	v_cndmask_b32_e32 v9, v9, v24, vcc
	v_cmp_class_f32_e32 vcc, v7, v4
	v_cndmask_b32_e32 v7, v9, v7, vcc
	v_mul_u32_u24_e32 v23, 0xd47, v23
	v_cmp_nge_f32_e32 vcc, 1.0, v7
	v_xor_b32_e32 v24, 0x7fffffff, v23
	v_sub_u32_e32 v25, 0, v23
	v_cndmask_b32_e32 v5, v8, v5, vcc
	v_cmp_lt_u32_e32 vcc, v6, v23
	v_cndmask_b32_e32 v8, v25, v24, vcc
	v_add_u32_e32 v6, v8, v6
	v_add_u32_e32 v8, -1, v6
	v_cvt_f32_u32_e32 v8, v8
	v_cvt_f32_u32_e32 v22, v22
	v_add_f32_e32 v7, 1.0, v5
	v_fma_f32 v8, v8, s29, 0
	v_fma_f32 v22, v22, s29, 0
	v_mul_f32_e32 v8, v8, v8
	v_fmac_f32_e32 v8, v22, v22
	v_mul_f32_e32 v9, 0x4f800000, v8
	v_cmp_gt_f32_e32 vcc, s40, v8
	v_cndmask_b32_e32 v8, v8, v9, vcc
	v_sqrt_f32_e32 v9, v8
	v_add_u32_e32 v22, -1, v9
	v_add_u32_e32 v23, 1, v9
	v_fma_f32 v24, -v22, v9, v8
	v_fma_f32 v25, -v23, v9, v8
	v_cmp_ge_f32_e64 s[22:23], 0, v24
	v_cndmask_b32_e64 v9, v9, v22, s[22:23]
	v_cmp_lt_f32_e64 s[22:23], 0, v25
	v_cndmask_b32_e64 v9, v9, v23, s[22:23]
	v_mul_f32_e32 v22, 0x37800000, v9
	v_cndmask_b32_e32 v9, v9, v22, vcc
	v_cmp_class_f32_e32 vcc, v8, v4
	v_cndmask_b32_e32 v8, v9, v8, vcc
	v_cmp_nge_f32_e32 vcc, 1.0, v8
	v_cndmask_b32_e32 v5, v7, v5, vcc
	s_cbranch_scc1 .LBB31_919
; %bb.920:
	v_mul_f32_e32 v4, 4.0, v5
	s_mov_b32 s26, 0x459c4000
	v_div_scale_f32 v5, s[22:23], s26, s26, v4
	v_div_scale_f32 v6, vcc, v4, s26, v4
	v_rcp_f32_e32 v7, v5
	v_fma_f32 v8, -v5, v7, 1.0
	v_fmac_f32_e32 v7, v8, v7
	v_mul_f32_e32 v8, v6, v7
	v_fma_f32 v9, -v5, v8, v6
	v_fmac_f32_e32 v8, v9, v7
	v_fma_f32 v5, -v5, v8, v6
	v_div_fmas_f32 v5, v5, v7, v8
	v_div_fixup_f32 v22, v5, s26, v4
.LBB31_921:
	s_or_b64 exec, exec, s[24:25]
	v_add_u32_e32 v4, 0x900, v12
	v_cmp_lt_u32_e64 s[22:23], v4, v10
                                        ; implicit-def: $vgpr23
	s_and_saveexec_b64 s[26:27], s[22:23]
	s_cbranch_execz .LBB31_941
; %bb.922:
	v_add_u32_e32 v4, v13, v4
	s_movk_i32 s24, 0x1388
	v_mul_lo_u32 v4, v4, s24
	v_mov_b32_e32 v6, 1
	v_cmp_ne_u32_e32 vcc, 0, v4
	s_and_saveexec_b64 s[24:25], vcc
	s_cbranch_execz .LBB31_938
; %bb.923:
	v_mov_b32_e32 v5, 0
	v_mov_b32_e32 v8, 1
	;; [unrolled: 1-line block ×3, first 2 shown]
	s_mov_b64 s[40:41], 0xbc8f
	v_mov_b32_e32 v9, 0
	s_mov_b64 s[28:29], 0
	s_brev_b32 s44, -2
	v_mov_b32_e32 v6, v4
	s_branch .LBB31_925
.LBB31_924:                             ;   in Loop: Header=BB31_925 Depth=1
	s_or_b64 exec, exec, s[42:43]
	s_mul_i32 s41, s40, s41
	s_mul_hi_u32 s42, s40, s40
	s_add_i32 s42, s42, s41
	s_add_i32 s42, s42, s41
	s_mul_i32 s43, s40, s40
	s_mul_i32 s41, s42, 3
	s_mul_hi_u32 s45, s43, 3
	s_mul_hi_u32 s40, s42, 3
	s_add_u32 s41, s41, s45
	s_addc_u32 s40, s40, 0
	s_mul_i32 s46, s43, 0x80000001
	s_mul_hi_u32 s45, s43, 0x80000001
	s_add_u32 s41, s46, s41
	s_addc_u32 s41, s45, 0
	s_add_u32 s40, s40, s41
	s_addc_u32 s41, 0, 0
	s_mul_i32 s46, s42, 0x80000001
	s_mul_hi_u32 s45, s42, 0x80000001
	s_add_u32 s40, s46, s40
	s_addc_u32 s41, s45, s41
	s_lshr_b32 s45, s41, 30
	s_lshr_b64 s[40:41], s[40:41], 30
	s_mul_i32 s45, s45, 0x7fffffff
	s_mul_hi_u32 s41, s40, 0x7fffffff
	v_lshrrev_b64 v[23:24], 1, v[6:7]
	s_add_i32 s41, s41, s45
	s_mul_i32 s40, s40, 0x7fffffff
	s_sub_u32 s40, s43, s40
	v_cmp_gt_u64_e32 vcc, 2, v[6:7]
	s_subb_u32 s41, s42, s41
	v_mov_b32_e32 v6, v23
	s_or_b64 s[28:29], vcc, s[28:29]
	v_mov_b32_e32 v7, v24
	s_andn2_b64 exec, exec, s[28:29]
	s_cbranch_execz .LBB31_937
.LBB31_925:                             ; =>This Inner Loop Header: Depth=1
	v_and_b32_e32 v4, 1, v6
	v_cmp_eq_u32_e32 vcc, 1, v4
	s_and_saveexec_b64 s[42:43], vcc
	s_cbranch_execz .LBB31_924
; %bb.926:                              ;   in Loop: Header=BB31_925 Depth=1
	v_mad_u64_u32 v[23:24], s[46:47], s40, v8, 0
	v_mul_lo_u32 v8, s41, v8
	v_mul_lo_u32 v9, s40, v9
	v_mul_hi_u32 v4, v23, 5
	v_add3_u32 v26, v24, v9, v8
	v_mad_u64_u32 v[8:9], s[46:47], v26, 5, v[4:5]
	v_mov_b32_e32 v4, v8
	v_mad_u64_u32 v[24:25], s[46:47], v23, 2, v[4:5]
	v_add_co_u32_e32 v8, vcc, v9, v25
	v_addc_co_u32_e64 v9, s[46:47], 0, 0, vcc
	v_mad_u64_u32 v[8:9], s[46:47], v26, 2, v[8:9]
	v_sub_co_u32_e32 v24, vcc, v23, v8
	v_subb_co_u32_e32 v25, vcc, v26, v9, vcc
	v_lshrrev_b64 v[24:25], 1, v[24:25]
	v_add_co_u32_e32 v4, vcc, v24, v8
	v_addc_co_u32_e32 v24, vcc, v25, v9, vcc
	v_alignbit_b32 v4, v24, v4, 30
	v_mad_u64_u32 v[8:9], s[46:47], v4, s44, 0
	v_lshrrev_b32_e32 v24, 30, v24
	v_mov_b32_e32 v4, v9
	v_mad_u64_u32 v[24:25], s[46:47], v24, s44, v[4:5]
	v_sub_co_u32_e32 v8, vcc, v23, v8
	v_subb_co_u32_e32 v9, vcc, v26, v24, vcc
	s_branch .LBB31_924
.LBB31_927:
	s_or_b64 exec, exec, s[28:29]
	v_add_u32_e32 v6, 0x80000001, v10
	v_min_u32_e32 v6, v6, v10
	v_add_u32_e32 v7, 0x80000001, v6
	v_min_u32_e32 v8, v7, v6
.LBB31_928:
	s_or_b64 exec, exec, s[24:25]
	v_mov_b32_e32 v7, 0
	s_movk_i32 s28, 0x1388
	s_mov_b32 s29, 0xbc8f1391
	s_mov_b32 s40, 0xbc8f
	s_brev_b32 s41, 12
	s_mov_b32 s42, 0xf800000
	v_mov_b32_e32 v6, 0x260
.LBB31_929:                             ; =>This Inner Loop Header: Depth=1
	v_mul_hi_u32 v9, v8, s29
	v_add_f32_e32 v10, 1.0, v7
	s_add_i32 s28, s28, -2
	s_cmp_lg_u32 s28, 0
	v_lshrrev_b32_e32 v9, 15, v9
	v_mul_u32_u24_e32 v11, 0xadc8, v9
	v_sub_u32_e32 v8, v8, v11
	v_mul_lo_u32 v8, v8, s40
	v_mul_u32_u24_e32 v9, 0xd47, v9
	v_xor_b32_e32 v11, 0x7fffffff, v9
	v_sub_u32_e32 v25, 0, v9
	v_cmp_lt_u32_e32 vcc, v8, v9
	v_cndmask_b32_e32 v9, v25, v11, vcc
	v_add_u32_e32 v8, v9, v8
	v_mul_hi_u32 v11, v8, s29
	v_add_u32_e32 v9, -1, v8
	v_cvt_f32_u32_e32 v9, v9
	v_lshrrev_b32_e32 v11, 15, v11
	v_mul_u32_u24_e32 v25, 0xadc8, v11
	v_sub_u32_e32 v8, v8, v25
	v_mul_lo_u32 v8, v8, s40
	v_mul_u32_u24_e32 v11, 0xd47, v11
	v_xor_b32_e32 v25, 0x7fffffff, v11
	v_sub_u32_e32 v33, 0, v11
	v_cmp_lt_u32_e32 vcc, v8, v11
	v_cndmask_b32_e32 v11, v33, v25, vcc
	v_add_u32_e32 v8, v11, v8
	v_mul_hi_u32 v25, v8, s29
	v_add_u32_e32 v11, -1, v8
	v_cvt_f32_u32_e32 v11, v11
	v_fma_f32 v9, v9, s41, 0
	v_lshrrev_b32_e32 v25, 15, v25
	v_mul_u32_u24_e32 v33, 0xadc8, v25
	v_fma_f32 v11, v11, s41, 0
	v_sub_u32_e32 v8, v8, v33
	v_mul_f32_e32 v11, v11, v11
	v_mul_lo_u32 v8, v8, s40
	v_fmac_f32_e32 v11, v9, v9
	v_mul_f32_e32 v9, 0x4f800000, v11
	v_cmp_gt_f32_e32 vcc, s42, v11
	v_mul_u32_u24_e32 v25, 0xd47, v25
	v_cndmask_b32_e32 v9, v11, v9, vcc
	v_xor_b32_e32 v33, 0x7fffffff, v25
	v_sub_u32_e32 v34, 0, v25
	v_sqrt_f32_e32 v11, v9
	v_cmp_lt_u32_e64 s[24:25], v8, v25
	v_cndmask_b32_e64 v25, v34, v33, s[24:25]
	v_add_u32_e32 v8, v25, v8
	v_mul_hi_u32 v33, v8, s29
	v_add_u32_e32 v34, -1, v11
	v_add_u32_e32 v35, 1, v11
	v_fma_f32 v36, -v34, v11, v9
	v_fma_f32 v37, -v35, v11, v9
	v_cmp_ge_f32_e64 s[24:25], 0, v36
	v_cndmask_b32_e64 v11, v11, v34, s[24:25]
	v_cmp_lt_f32_e64 s[24:25], 0, v37
	v_lshrrev_b32_e32 v33, 15, v33
	v_cndmask_b32_e64 v11, v11, v35, s[24:25]
	v_mul_u32_u24_e32 v35, 0xadc8, v33
	v_add_u32_e32 v25, -1, v8
	v_sub_u32_e32 v8, v8, v35
	v_mul_f32_e32 v34, 0x37800000, v11
	v_mul_lo_u32 v8, v8, s40
	v_cndmask_b32_e32 v11, v11, v34, vcc
	v_cmp_class_f32_e32 vcc, v9, v6
	v_cndmask_b32_e32 v9, v11, v9, vcc
	v_mul_u32_u24_e32 v33, 0xd47, v33
	v_cmp_nge_f32_e32 vcc, 1.0, v9
	v_xor_b32_e32 v34, 0x7fffffff, v33
	v_sub_u32_e32 v35, 0, v33
	v_cndmask_b32_e32 v7, v10, v7, vcc
	v_cmp_lt_u32_e32 vcc, v8, v33
	v_cndmask_b32_e32 v10, v35, v34, vcc
	v_add_u32_e32 v8, v10, v8
	v_add_u32_e32 v10, -1, v8
	v_cvt_f32_u32_e32 v10, v10
	v_cvt_f32_u32_e32 v25, v25
	v_add_f32_e32 v9, 1.0, v7
	v_fma_f32 v10, v10, s41, 0
	v_fma_f32 v25, v25, s41, 0
	v_mul_f32_e32 v10, v10, v10
	v_fmac_f32_e32 v10, v25, v25
	v_mul_f32_e32 v11, 0x4f800000, v10
	v_cmp_gt_f32_e32 vcc, s42, v10
	v_cndmask_b32_e32 v10, v10, v11, vcc
	v_sqrt_f32_e32 v11, v10
	v_add_u32_e32 v25, -1, v11
	v_add_u32_e32 v33, 1, v11
	v_fma_f32 v34, -v25, v11, v10
	v_fma_f32 v35, -v33, v11, v10
	v_cmp_ge_f32_e64 s[24:25], 0, v34
	v_cndmask_b32_e64 v11, v11, v25, s[24:25]
	v_cmp_lt_f32_e64 s[24:25], 0, v35
	v_cndmask_b32_e64 v11, v11, v33, s[24:25]
	v_mul_f32_e32 v25, 0x37800000, v11
	v_cndmask_b32_e32 v11, v11, v25, vcc
	v_cmp_class_f32_e32 vcc, v10, v6
	v_cndmask_b32_e32 v10, v11, v10, vcc
	v_cmp_nge_f32_e32 vcc, 1.0, v10
	v_cndmask_b32_e32 v7, v9, v7, vcc
	s_cbranch_scc1 .LBB31_929
; %bb.930:
	v_mul_f32_e32 v6, 4.0, v7
	s_mov_b32 s28, 0x459c4000
	v_div_scale_f32 v7, s[24:25], s28, s28, v6
	v_div_scale_f32 v8, vcc, v6, s28, v6
	v_rcp_f32_e32 v9, v7
	v_fma_f32 v10, -v7, v9, 1.0
	v_fmac_f32_e32 v9, v10, v9
	v_mul_f32_e32 v10, v8, v9
	v_fma_f32 v11, -v7, v10, v8
	v_fmac_f32_e32 v10, v11, v9
	v_fma_f32 v7, -v7, v10, v8
	v_div_fmas_f32 v7, v7, v9, v10
	v_div_fixup_f32 v25, v7, s28, v6
.LBB31_931:
	s_or_b64 exec, exec, s[26:27]
	v_add_u32_e32 v6, 0xa00, v14
	v_cmp_lt_u32_e64 s[24:25], v6, v12
	s_and_saveexec_b64 s[28:29], s[24:25]
	s_cbranch_execz .LBB31_951
; %bb.932:
	v_add_u32_e32 v6, v15, v6
	s_movk_i32 s26, 0x1388
	v_mul_lo_u32 v6, v6, s26
	v_mov_b32_e32 v8, 1
	v_cmp_ne_u32_e32 vcc, 0, v6
	s_and_saveexec_b64 s[26:27], vcc
	s_cbranch_execz .LBB31_948
; %bb.933:
	v_mov_b32_e32 v7, 0
	v_mov_b32_e32 v10, 1
	;; [unrolled: 1-line block ×3, first 2 shown]
	s_mov_b64 s[42:43], 0xbc8f
	v_mov_b32_e32 v11, 0
	s_mov_b64 s[40:41], 0
	s_brev_b32 s46, -2
	v_mov_b32_e32 v8, v6
	s_branch .LBB31_935
.LBB31_934:                             ;   in Loop: Header=BB31_935 Depth=1
	s_or_b64 exec, exec, s[44:45]
	s_mul_i32 s43, s42, s43
	s_mul_hi_u32 s44, s42, s42
	s_add_i32 s44, s44, s43
	s_add_i32 s44, s44, s43
	s_mul_i32 s45, s42, s42
	s_mul_i32 s43, s44, 3
	s_mul_hi_u32 s47, s45, 3
	s_mul_hi_u32 s42, s44, 3
	s_add_u32 s43, s43, s47
	s_addc_u32 s42, s42, 0
	s_mul_i32 s60, s45, 0x80000001
	s_mul_hi_u32 s47, s45, 0x80000001
	s_add_u32 s43, s60, s43
	s_addc_u32 s43, s47, 0
	s_add_u32 s42, s42, s43
	s_addc_u32 s43, 0, 0
	s_mul_i32 s60, s44, 0x80000001
	s_mul_hi_u32 s47, s44, 0x80000001
	s_add_u32 s42, s60, s42
	s_addc_u32 s43, s47, s43
	s_lshr_b32 s47, s43, 30
	s_lshr_b64 s[42:43], s[42:43], 30
	s_mul_i32 s47, s47, 0x7fffffff
	s_mul_hi_u32 s43, s42, 0x7fffffff
	v_lshrrev_b64 v[33:34], 1, v[8:9]
	s_add_i32 s43, s43, s47
	s_mul_i32 s42, s42, 0x7fffffff
	s_sub_u32 s42, s45, s42
	v_cmp_gt_u64_e32 vcc, 2, v[8:9]
	s_subb_u32 s43, s44, s43
	v_mov_b32_e32 v8, v33
	s_or_b64 s[40:41], vcc, s[40:41]
	v_mov_b32_e32 v9, v34
	s_andn2_b64 exec, exec, s[40:41]
	s_cbranch_execz .LBB31_947
.LBB31_935:                             ; =>This Inner Loop Header: Depth=1
	v_and_b32_e32 v6, 1, v8
	v_cmp_eq_u32_e32 vcc, 1, v6
	s_and_saveexec_b64 s[44:45], vcc
	s_cbranch_execz .LBB31_934
; %bb.936:                              ;   in Loop: Header=BB31_935 Depth=1
	v_mad_u64_u32 v[33:34], s[60:61], s42, v10, 0
	v_mul_lo_u32 v10, s43, v10
	v_mul_lo_u32 v11, s42, v11
	v_mul_hi_u32 v6, v33, 5
	v_add3_u32 v26, v34, v11, v10
	v_mad_u64_u32 v[10:11], s[60:61], v26, 5, v[6:7]
	v_mov_b32_e32 v6, v10
	v_mad_u64_u32 v[34:35], s[60:61], v33, 2, v[6:7]
	v_add_co_u32_e32 v10, vcc, v11, v35
	v_addc_co_u32_e64 v11, s[60:61], 0, 0, vcc
	v_mad_u64_u32 v[10:11], s[60:61], v26, 2, v[10:11]
	v_sub_co_u32_e32 v34, vcc, v33, v10
	v_subb_co_u32_e32 v35, vcc, v26, v11, vcc
	v_lshrrev_b64 v[34:35], 1, v[34:35]
	v_add_co_u32_e32 v6, vcc, v34, v10
	v_addc_co_u32_e32 v34, vcc, v35, v11, vcc
	v_alignbit_b32 v6, v34, v6, 30
	v_mad_u64_u32 v[10:11], s[60:61], v6, s46, 0
	v_lshrrev_b32_e32 v34, 30, v34
	v_mov_b32_e32 v6, v11
	v_mad_u64_u32 v[34:35], s[60:61], v34, s46, v[6:7]
	v_sub_co_u32_e32 v10, vcc, v33, v10
	v_subb_co_u32_e32 v11, vcc, v26, v34, vcc
	s_branch .LBB31_934
.LBB31_937:
	s_or_b64 exec, exec, s[28:29]
	v_add_u32_e32 v4, 0x80000001, v8
	v_min_u32_e32 v4, v4, v8
	v_add_u32_e32 v5, 0x80000001, v4
	v_min_u32_e32 v6, v5, v4
.LBB31_938:
	s_or_b64 exec, exec, s[24:25]
	v_mov_b32_e32 v5, 0
	s_movk_i32 s28, 0x1388
	s_mov_b32 s29, 0xbc8f1391
	s_mov_b32 s40, 0xbc8f
	s_brev_b32 s41, 12
	s_mov_b32 s42, 0xf800000
	v_mov_b32_e32 v4, 0x260
.LBB31_939:                             ; =>This Inner Loop Header: Depth=1
	v_mul_hi_u32 v7, v6, s29
	v_add_f32_e32 v8, 1.0, v5
	s_add_i32 s28, s28, -2
	s_cmp_lg_u32 s28, 0
	v_lshrrev_b32_e32 v7, 15, v7
	v_mul_u32_u24_e32 v9, 0xadc8, v7
	v_sub_u32_e32 v6, v6, v9
	v_mul_lo_u32 v6, v6, s40
	v_mul_u32_u24_e32 v7, 0xd47, v7
	v_xor_b32_e32 v9, 0x7fffffff, v7
	v_sub_u32_e32 v23, 0, v7
	v_cmp_lt_u32_e32 vcc, v6, v7
	v_cndmask_b32_e32 v7, v23, v9, vcc
	v_add_u32_e32 v6, v7, v6
	v_mul_hi_u32 v9, v6, s29
	v_add_u32_e32 v7, -1, v6
	v_cvt_f32_u32_e32 v7, v7
	v_lshrrev_b32_e32 v9, 15, v9
	v_mul_u32_u24_e32 v23, 0xadc8, v9
	v_sub_u32_e32 v6, v6, v23
	v_mul_lo_u32 v6, v6, s40
	v_mul_u32_u24_e32 v9, 0xd47, v9
	v_xor_b32_e32 v23, 0x7fffffff, v9
	v_sub_u32_e32 v24, 0, v9
	v_cmp_lt_u32_e32 vcc, v6, v9
	v_cndmask_b32_e32 v9, v24, v23, vcc
	v_add_u32_e32 v6, v9, v6
	v_mul_hi_u32 v23, v6, s29
	v_add_u32_e32 v9, -1, v6
	v_cvt_f32_u32_e32 v9, v9
	v_fma_f32 v7, v7, s41, 0
	v_lshrrev_b32_e32 v23, 15, v23
	v_mul_u32_u24_e32 v24, 0xadc8, v23
	v_fma_f32 v9, v9, s41, 0
	v_sub_u32_e32 v6, v6, v24
	v_mul_f32_e32 v9, v9, v9
	v_mul_lo_u32 v6, v6, s40
	v_fmac_f32_e32 v9, v7, v7
	v_mul_f32_e32 v7, 0x4f800000, v9
	v_cmp_gt_f32_e32 vcc, s42, v9
	v_mul_u32_u24_e32 v23, 0xd47, v23
	v_cndmask_b32_e32 v7, v9, v7, vcc
	v_xor_b32_e32 v24, 0x7fffffff, v23
	v_sub_u32_e32 v25, 0, v23
	v_sqrt_f32_e32 v9, v7
	v_cmp_lt_u32_e64 s[24:25], v6, v23
	v_cndmask_b32_e64 v23, v25, v24, s[24:25]
	v_add_u32_e32 v6, v23, v6
	v_mul_hi_u32 v24, v6, s29
	v_add_u32_e32 v25, -1, v9
	v_add_u32_e32 v26, 1, v9
	v_fma_f32 v27, -v25, v9, v7
	v_fma_f32 v28, -v26, v9, v7
	v_cmp_ge_f32_e64 s[24:25], 0, v27
	v_cndmask_b32_e64 v9, v9, v25, s[24:25]
	v_cmp_lt_f32_e64 s[24:25], 0, v28
	v_lshrrev_b32_e32 v24, 15, v24
	v_cndmask_b32_e64 v9, v9, v26, s[24:25]
	v_mul_u32_u24_e32 v26, 0xadc8, v24
	v_add_u32_e32 v23, -1, v6
	v_sub_u32_e32 v6, v6, v26
	v_mul_f32_e32 v25, 0x37800000, v9
	v_mul_lo_u32 v6, v6, s40
	v_cndmask_b32_e32 v9, v9, v25, vcc
	v_cmp_class_f32_e32 vcc, v7, v4
	v_cndmask_b32_e32 v7, v9, v7, vcc
	v_mul_u32_u24_e32 v24, 0xd47, v24
	v_cmp_nge_f32_e32 vcc, 1.0, v7
	v_xor_b32_e32 v25, 0x7fffffff, v24
	v_sub_u32_e32 v26, 0, v24
	v_cndmask_b32_e32 v5, v8, v5, vcc
	v_cmp_lt_u32_e32 vcc, v6, v24
	v_cndmask_b32_e32 v8, v26, v25, vcc
	v_add_u32_e32 v6, v8, v6
	v_add_u32_e32 v8, -1, v6
	v_cvt_f32_u32_e32 v8, v8
	v_cvt_f32_u32_e32 v23, v23
	v_add_f32_e32 v7, 1.0, v5
	v_fma_f32 v8, v8, s41, 0
	v_fma_f32 v23, v23, s41, 0
	v_mul_f32_e32 v8, v8, v8
	v_fmac_f32_e32 v8, v23, v23
	v_mul_f32_e32 v9, 0x4f800000, v8
	v_cmp_gt_f32_e32 vcc, s42, v8
	v_cndmask_b32_e32 v8, v8, v9, vcc
	v_sqrt_f32_e32 v9, v8
	v_add_u32_e32 v23, -1, v9
	v_add_u32_e32 v24, 1, v9
	v_fma_f32 v25, -v23, v9, v8
	v_fma_f32 v26, -v24, v9, v8
	v_cmp_ge_f32_e64 s[24:25], 0, v25
	v_cndmask_b32_e64 v9, v9, v23, s[24:25]
	v_cmp_lt_f32_e64 s[24:25], 0, v26
	v_cndmask_b32_e64 v9, v9, v24, s[24:25]
	v_mul_f32_e32 v23, 0x37800000, v9
	v_cndmask_b32_e32 v9, v9, v23, vcc
	v_cmp_class_f32_e32 vcc, v8, v4
	v_cndmask_b32_e32 v8, v9, v8, vcc
	v_cmp_nge_f32_e32 vcc, 1.0, v8
	v_cndmask_b32_e32 v5, v7, v5, vcc
	s_cbranch_scc1 .LBB31_939
; %bb.940:
	v_mul_f32_e32 v4, 4.0, v5
	s_mov_b32 s28, 0x459c4000
	v_div_scale_f32 v5, s[24:25], s28, s28, v4
	v_div_scale_f32 v6, vcc, v4, s28, v4
	v_rcp_f32_e32 v7, v5
	v_fma_f32 v8, -v5, v7, 1.0
	v_fmac_f32_e32 v7, v8, v7
	v_mul_f32_e32 v8, v6, v7
	v_fma_f32 v9, -v5, v8, v6
	v_fmac_f32_e32 v8, v9, v7
	v_fma_f32 v5, -v5, v8, v6
	v_div_fmas_f32 v5, v5, v7, v8
	v_div_fixup_f32 v23, v5, s28, v4
.LBB31_941:
	s_or_b64 exec, exec, s[26:27]
	v_add_u32_e32 v4, 0xa00, v12
	v_cmp_lt_u32_e64 s[24:25], v4, v10
                                        ; implicit-def: $vgpr24
	s_and_saveexec_b64 s[28:29], s[24:25]
	s_cbranch_execz .LBB31_961
; %bb.942:
	v_add_u32_e32 v4, v13, v4
	s_movk_i32 s26, 0x1388
	v_mul_lo_u32 v4, v4, s26
	v_mov_b32_e32 v6, 1
	v_cmp_ne_u32_e32 vcc, 0, v4
	s_and_saveexec_b64 s[26:27], vcc
	s_cbranch_execz .LBB31_958
; %bb.943:
	v_mov_b32_e32 v5, 0
	v_mov_b32_e32 v8, 1
	;; [unrolled: 1-line block ×3, first 2 shown]
	s_mov_b64 s[42:43], 0xbc8f
	v_mov_b32_e32 v9, 0
	s_mov_b64 s[40:41], 0
	s_brev_b32 s46, -2
	v_mov_b32_e32 v6, v4
	s_branch .LBB31_945
.LBB31_944:                             ;   in Loop: Header=BB31_945 Depth=1
	s_or_b64 exec, exec, s[44:45]
	s_mul_i32 s43, s42, s43
	s_mul_hi_u32 s44, s42, s42
	s_add_i32 s44, s44, s43
	s_add_i32 s44, s44, s43
	s_mul_i32 s45, s42, s42
	s_mul_i32 s43, s44, 3
	s_mul_hi_u32 s47, s45, 3
	s_mul_hi_u32 s42, s44, 3
	s_add_u32 s43, s43, s47
	s_addc_u32 s42, s42, 0
	s_mul_i32 s56, s45, 0x80000001
	s_mul_hi_u32 s47, s45, 0x80000001
	s_add_u32 s43, s56, s43
	s_addc_u32 s43, s47, 0
	s_add_u32 s42, s42, s43
	s_addc_u32 s43, 0, 0
	s_mul_i32 s56, s44, 0x80000001
	s_mul_hi_u32 s47, s44, 0x80000001
	s_add_u32 s42, s56, s42
	s_addc_u32 s43, s47, s43
	s_lshr_b32 s47, s43, 30
	s_lshr_b64 s[42:43], s[42:43], 30
	s_mul_i32 s47, s47, 0x7fffffff
	s_mul_hi_u32 s43, s42, 0x7fffffff
	v_lshrrev_b64 v[24:25], 1, v[6:7]
	s_add_i32 s43, s43, s47
	s_mul_i32 s42, s42, 0x7fffffff
	s_sub_u32 s42, s45, s42
	v_cmp_gt_u64_e32 vcc, 2, v[6:7]
	s_subb_u32 s43, s44, s43
	v_mov_b32_e32 v6, v24
	s_or_b64 s[40:41], vcc, s[40:41]
	v_mov_b32_e32 v7, v25
	s_andn2_b64 exec, exec, s[40:41]
	s_cbranch_execz .LBB31_957
.LBB31_945:                             ; =>This Inner Loop Header: Depth=1
	v_and_b32_e32 v4, 1, v6
	v_cmp_eq_u32_e32 vcc, 1, v4
	s_and_saveexec_b64 s[44:45], vcc
	s_cbranch_execz .LBB31_944
; %bb.946:                              ;   in Loop: Header=BB31_945 Depth=1
	v_mad_u64_u32 v[24:25], s[56:57], s42, v8, 0
	v_mul_lo_u32 v8, s43, v8
	v_mul_lo_u32 v9, s42, v9
	v_mul_hi_u32 v4, v24, 5
	v_add3_u32 v27, v25, v9, v8
	v_mad_u64_u32 v[8:9], s[56:57], v27, 5, v[4:5]
	v_mov_b32_e32 v4, v8
	v_mad_u64_u32 v[25:26], s[56:57], v24, 2, v[4:5]
	v_add_co_u32_e32 v8, vcc, v9, v26
	v_addc_co_u32_e64 v9, s[56:57], 0, 0, vcc
	v_mad_u64_u32 v[8:9], s[56:57], v27, 2, v[8:9]
	v_sub_co_u32_e32 v25, vcc, v24, v8
	v_subb_co_u32_e32 v26, vcc, v27, v9, vcc
	v_lshrrev_b64 v[25:26], 1, v[25:26]
	v_add_co_u32_e32 v4, vcc, v25, v8
	v_addc_co_u32_e32 v25, vcc, v26, v9, vcc
	v_alignbit_b32 v4, v25, v4, 30
	v_mad_u64_u32 v[8:9], s[56:57], v4, s46, 0
	v_lshrrev_b32_e32 v25, 30, v25
	v_mov_b32_e32 v4, v9
	v_mad_u64_u32 v[25:26], s[56:57], v25, s46, v[4:5]
	v_sub_co_u32_e32 v8, vcc, v24, v8
	v_subb_co_u32_e32 v9, vcc, v27, v25, vcc
	s_branch .LBB31_944
.LBB31_947:
	s_or_b64 exec, exec, s[40:41]
	v_add_u32_e32 v6, 0x80000001, v10
	v_min_u32_e32 v6, v6, v10
	v_add_u32_e32 v7, 0x80000001, v6
	v_min_u32_e32 v8, v7, v6
.LBB31_948:
	s_or_b64 exec, exec, s[26:27]
	v_mov_b32_e32 v7, 0
	s_movk_i32 s40, 0x1388
	s_mov_b32 s41, 0xbc8f1391
	s_mov_b32 s42, 0xbc8f
	s_brev_b32 s43, 12
	s_mov_b32 s44, 0xf800000
	v_mov_b32_e32 v6, 0x260
.LBB31_949:                             ; =>This Inner Loop Header: Depth=1
	v_mul_hi_u32 v9, v8, s41
	v_add_f32_e32 v10, 1.0, v7
	s_add_i32 s40, s40, -2
	s_cmp_lg_u32 s40, 0
	v_lshrrev_b32_e32 v9, 15, v9
	v_mul_u32_u24_e32 v11, 0xadc8, v9
	v_sub_u32_e32 v8, v8, v11
	v_mul_lo_u32 v8, v8, s42
	v_mul_u32_u24_e32 v9, 0xd47, v9
	v_xor_b32_e32 v11, 0x7fffffff, v9
	v_sub_u32_e32 v26, 0, v9
	v_cmp_lt_u32_e32 vcc, v8, v9
	v_cndmask_b32_e32 v9, v26, v11, vcc
	v_add_u32_e32 v8, v9, v8
	v_mul_hi_u32 v11, v8, s41
	v_add_u32_e32 v9, -1, v8
	v_cvt_f32_u32_e32 v9, v9
	v_lshrrev_b32_e32 v11, 15, v11
	v_mul_u32_u24_e32 v26, 0xadc8, v11
	v_sub_u32_e32 v8, v8, v26
	v_mul_lo_u32 v8, v8, s42
	v_mul_u32_u24_e32 v11, 0xd47, v11
	v_xor_b32_e32 v26, 0x7fffffff, v11
	v_sub_u32_e32 v33, 0, v11
	v_cmp_lt_u32_e32 vcc, v8, v11
	v_cndmask_b32_e32 v11, v33, v26, vcc
	v_add_u32_e32 v8, v11, v8
	v_mul_hi_u32 v26, v8, s41
	v_add_u32_e32 v11, -1, v8
	v_cvt_f32_u32_e32 v11, v11
	v_fma_f32 v9, v9, s43, 0
	v_lshrrev_b32_e32 v26, 15, v26
	v_mul_u32_u24_e32 v33, 0xadc8, v26
	v_fma_f32 v11, v11, s43, 0
	v_sub_u32_e32 v8, v8, v33
	v_mul_f32_e32 v11, v11, v11
	v_mul_lo_u32 v8, v8, s42
	v_fmac_f32_e32 v11, v9, v9
	v_mul_f32_e32 v9, 0x4f800000, v11
	v_cmp_gt_f32_e32 vcc, s44, v11
	v_mul_u32_u24_e32 v26, 0xd47, v26
	v_cndmask_b32_e32 v9, v11, v9, vcc
	v_xor_b32_e32 v33, 0x7fffffff, v26
	v_sub_u32_e32 v34, 0, v26
	v_sqrt_f32_e32 v11, v9
	v_cmp_lt_u32_e64 s[26:27], v8, v26
	v_cndmask_b32_e64 v26, v34, v33, s[26:27]
	v_add_u32_e32 v8, v26, v8
	v_mul_hi_u32 v33, v8, s41
	v_add_u32_e32 v34, -1, v11
	v_add_u32_e32 v35, 1, v11
	v_fma_f32 v36, -v34, v11, v9
	v_fma_f32 v37, -v35, v11, v9
	v_cmp_ge_f32_e64 s[26:27], 0, v36
	v_cndmask_b32_e64 v11, v11, v34, s[26:27]
	v_cmp_lt_f32_e64 s[26:27], 0, v37
	v_lshrrev_b32_e32 v33, 15, v33
	v_cndmask_b32_e64 v11, v11, v35, s[26:27]
	v_mul_u32_u24_e32 v35, 0xadc8, v33
	v_add_u32_e32 v26, -1, v8
	v_sub_u32_e32 v8, v8, v35
	v_mul_f32_e32 v34, 0x37800000, v11
	v_mul_lo_u32 v8, v8, s42
	v_cndmask_b32_e32 v11, v11, v34, vcc
	v_cmp_class_f32_e32 vcc, v9, v6
	v_cndmask_b32_e32 v9, v11, v9, vcc
	v_mul_u32_u24_e32 v33, 0xd47, v33
	v_cmp_nge_f32_e32 vcc, 1.0, v9
	v_xor_b32_e32 v34, 0x7fffffff, v33
	v_sub_u32_e32 v35, 0, v33
	v_cndmask_b32_e32 v7, v10, v7, vcc
	v_cmp_lt_u32_e32 vcc, v8, v33
	v_cndmask_b32_e32 v10, v35, v34, vcc
	v_add_u32_e32 v8, v10, v8
	v_add_u32_e32 v10, -1, v8
	v_cvt_f32_u32_e32 v10, v10
	v_cvt_f32_u32_e32 v26, v26
	v_add_f32_e32 v9, 1.0, v7
	v_fma_f32 v10, v10, s43, 0
	v_fma_f32 v26, v26, s43, 0
	v_mul_f32_e32 v10, v10, v10
	v_fmac_f32_e32 v10, v26, v26
	v_mul_f32_e32 v11, 0x4f800000, v10
	v_cmp_gt_f32_e32 vcc, s44, v10
	v_cndmask_b32_e32 v10, v10, v11, vcc
	v_sqrt_f32_e32 v11, v10
	v_add_u32_e32 v26, -1, v11
	v_add_u32_e32 v33, 1, v11
	v_fma_f32 v34, -v26, v11, v10
	v_fma_f32 v35, -v33, v11, v10
	v_cmp_ge_f32_e64 s[26:27], 0, v34
	v_cndmask_b32_e64 v11, v11, v26, s[26:27]
	v_cmp_lt_f32_e64 s[26:27], 0, v35
	v_cndmask_b32_e64 v11, v11, v33, s[26:27]
	v_mul_f32_e32 v26, 0x37800000, v11
	v_cndmask_b32_e32 v11, v11, v26, vcc
	v_cmp_class_f32_e32 vcc, v10, v6
	v_cndmask_b32_e32 v10, v11, v10, vcc
	v_cmp_nge_f32_e32 vcc, 1.0, v10
	v_cndmask_b32_e32 v7, v9, v7, vcc
	s_cbranch_scc1 .LBB31_949
; %bb.950:
	v_mul_f32_e32 v6, 4.0, v7
	s_mov_b32 s40, 0x459c4000
	v_div_scale_f32 v7, s[26:27], s40, s40, v6
	v_div_scale_f32 v8, vcc, v6, s40, v6
	v_rcp_f32_e32 v9, v7
	v_fma_f32 v10, -v7, v9, 1.0
	v_fmac_f32_e32 v9, v10, v9
	v_mul_f32_e32 v10, v8, v9
	v_fma_f32 v11, -v7, v10, v8
	v_fmac_f32_e32 v10, v11, v9
	v_fma_f32 v7, -v7, v10, v8
	v_div_fmas_f32 v7, v7, v9, v10
	v_div_fixup_f32 v26, v7, s40, v6
.LBB31_951:
	s_or_b64 exec, exec, s[28:29]
	v_add_u32_e32 v6, 0xb00, v14
	v_cmp_lt_u32_e64 s[26:27], v6, v12
	s_and_saveexec_b64 s[40:41], s[26:27]
	s_cbranch_execz .LBB31_971
; %bb.952:
	v_add_u32_e32 v6, v15, v6
	s_movk_i32 s28, 0x1388
	v_mul_lo_u32 v6, v6, s28
	v_mov_b32_e32 v8, 1
	v_cmp_ne_u32_e32 vcc, 0, v6
	s_and_saveexec_b64 s[28:29], vcc
	s_cbranch_execz .LBB31_968
; %bb.953:
	v_mov_b32_e32 v7, 0
	v_mov_b32_e32 v10, 1
	v_mov_b32_e32 v9, v7
	s_mov_b64 s[44:45], 0xbc8f
	v_mov_b32_e32 v11, 0
	s_mov_b64 s[42:43], 0
	s_brev_b32 s60, -2
	v_mov_b32_e32 v8, v6
	s_branch .LBB31_955
.LBB31_954:                             ;   in Loop: Header=BB31_955 Depth=1
	s_or_b64 exec, exec, s[46:47]
	s_mul_i32 s45, s44, s45
	s_mul_hi_u32 s46, s44, s44
	s_add_i32 s46, s46, s45
	s_add_i32 s46, s46, s45
	s_mul_i32 s47, s44, s44
	s_mul_i32 s45, s46, 3
	s_mul_hi_u32 s61, s47, 3
	s_mul_hi_u32 s44, s46, 3
	s_add_u32 s45, s45, s61
	s_addc_u32 s44, s44, 0
	s_mul_i32 s62, s47, 0x80000001
	s_mul_hi_u32 s61, s47, 0x80000001
	s_add_u32 s45, s62, s45
	s_addc_u32 s45, s61, 0
	s_add_u32 s44, s44, s45
	s_addc_u32 s45, 0, 0
	s_mul_i32 s62, s46, 0x80000001
	s_mul_hi_u32 s61, s46, 0x80000001
	s_add_u32 s44, s62, s44
	s_addc_u32 s45, s61, s45
	s_lshr_b32 s61, s45, 30
	s_lshr_b64 s[44:45], s[44:45], 30
	s_mul_i32 s61, s61, 0x7fffffff
	s_mul_hi_u32 s45, s44, 0x7fffffff
	v_lshrrev_b64 v[33:34], 1, v[8:9]
	s_add_i32 s45, s45, s61
	s_mul_i32 s44, s44, 0x7fffffff
	s_sub_u32 s44, s47, s44
	v_cmp_gt_u64_e32 vcc, 2, v[8:9]
	s_subb_u32 s45, s46, s45
	v_mov_b32_e32 v8, v33
	s_or_b64 s[42:43], vcc, s[42:43]
	v_mov_b32_e32 v9, v34
	s_andn2_b64 exec, exec, s[42:43]
	s_cbranch_execz .LBB31_967
.LBB31_955:                             ; =>This Inner Loop Header: Depth=1
	v_and_b32_e32 v6, 1, v8
	v_cmp_eq_u32_e32 vcc, 1, v6
	s_and_saveexec_b64 s[46:47], vcc
	s_cbranch_execz .LBB31_954
; %bb.956:                              ;   in Loop: Header=BB31_955 Depth=1
	v_mad_u64_u32 v[33:34], s[62:63], s44, v10, 0
	v_mul_lo_u32 v10, s45, v10
	v_mul_lo_u32 v11, s44, v11
	v_mul_hi_u32 v6, v33, 5
	v_add3_u32 v27, v34, v11, v10
	v_mad_u64_u32 v[10:11], s[62:63], v27, 5, v[6:7]
	v_mov_b32_e32 v6, v10
	v_mad_u64_u32 v[34:35], s[62:63], v33, 2, v[6:7]
	v_add_co_u32_e32 v10, vcc, v11, v35
	v_addc_co_u32_e64 v11, s[62:63], 0, 0, vcc
	v_mad_u64_u32 v[10:11], s[62:63], v27, 2, v[10:11]
	v_sub_co_u32_e32 v34, vcc, v33, v10
	v_subb_co_u32_e32 v35, vcc, v27, v11, vcc
	v_lshrrev_b64 v[34:35], 1, v[34:35]
	v_add_co_u32_e32 v6, vcc, v34, v10
	v_addc_co_u32_e32 v34, vcc, v35, v11, vcc
	v_alignbit_b32 v6, v34, v6, 30
	v_mad_u64_u32 v[10:11], s[62:63], v6, s60, 0
	v_lshrrev_b32_e32 v34, 30, v34
	v_mov_b32_e32 v6, v11
	v_mad_u64_u32 v[34:35], s[62:63], v34, s60, v[6:7]
	v_sub_co_u32_e32 v10, vcc, v33, v10
	v_subb_co_u32_e32 v11, vcc, v27, v34, vcc
	s_branch .LBB31_954
.LBB31_957:
	s_or_b64 exec, exec, s[40:41]
	v_add_u32_e32 v4, 0x80000001, v8
	v_min_u32_e32 v4, v4, v8
	v_add_u32_e32 v5, 0x80000001, v4
	v_min_u32_e32 v6, v5, v4
.LBB31_958:
	s_or_b64 exec, exec, s[26:27]
	v_mov_b32_e32 v5, 0
	s_movk_i32 s40, 0x1388
	s_mov_b32 s41, 0xbc8f1391
	s_mov_b32 s42, 0xbc8f
	s_brev_b32 s43, 12
	s_mov_b32 s44, 0xf800000
	v_mov_b32_e32 v4, 0x260
.LBB31_959:                             ; =>This Inner Loop Header: Depth=1
	v_mul_hi_u32 v7, v6, s41
	v_add_f32_e32 v8, 1.0, v5
	s_add_i32 s40, s40, -2
	s_cmp_lg_u32 s40, 0
	v_lshrrev_b32_e32 v7, 15, v7
	v_mul_u32_u24_e32 v9, 0xadc8, v7
	v_sub_u32_e32 v6, v6, v9
	v_mul_lo_u32 v6, v6, s42
	v_mul_u32_u24_e32 v7, 0xd47, v7
	v_xor_b32_e32 v9, 0x7fffffff, v7
	v_sub_u32_e32 v24, 0, v7
	v_cmp_lt_u32_e32 vcc, v6, v7
	v_cndmask_b32_e32 v7, v24, v9, vcc
	v_add_u32_e32 v6, v7, v6
	v_mul_hi_u32 v9, v6, s41
	v_add_u32_e32 v7, -1, v6
	v_cvt_f32_u32_e32 v7, v7
	v_lshrrev_b32_e32 v9, 15, v9
	v_mul_u32_u24_e32 v24, 0xadc8, v9
	v_sub_u32_e32 v6, v6, v24
	v_mul_lo_u32 v6, v6, s42
	v_mul_u32_u24_e32 v9, 0xd47, v9
	v_xor_b32_e32 v24, 0x7fffffff, v9
	v_sub_u32_e32 v25, 0, v9
	v_cmp_lt_u32_e32 vcc, v6, v9
	v_cndmask_b32_e32 v9, v25, v24, vcc
	v_add_u32_e32 v6, v9, v6
	v_mul_hi_u32 v24, v6, s41
	v_add_u32_e32 v9, -1, v6
	v_cvt_f32_u32_e32 v9, v9
	v_fma_f32 v7, v7, s43, 0
	v_lshrrev_b32_e32 v24, 15, v24
	v_mul_u32_u24_e32 v25, 0xadc8, v24
	v_fma_f32 v9, v9, s43, 0
	v_sub_u32_e32 v6, v6, v25
	v_mul_f32_e32 v9, v9, v9
	v_mul_lo_u32 v6, v6, s42
	v_fmac_f32_e32 v9, v7, v7
	v_mul_f32_e32 v7, 0x4f800000, v9
	v_cmp_gt_f32_e32 vcc, s44, v9
	v_mul_u32_u24_e32 v24, 0xd47, v24
	v_cndmask_b32_e32 v7, v9, v7, vcc
	v_xor_b32_e32 v25, 0x7fffffff, v24
	v_sub_u32_e32 v26, 0, v24
	v_sqrt_f32_e32 v9, v7
	v_cmp_lt_u32_e64 s[26:27], v6, v24
	v_cndmask_b32_e64 v24, v26, v25, s[26:27]
	v_add_u32_e32 v6, v24, v6
	v_mul_hi_u32 v25, v6, s41
	v_add_u32_e32 v26, -1, v9
	v_add_u32_e32 v27, 1, v9
	v_fma_f32 v28, -v26, v9, v7
	v_fma_f32 v29, -v27, v9, v7
	v_cmp_ge_f32_e64 s[26:27], 0, v28
	v_cndmask_b32_e64 v9, v9, v26, s[26:27]
	v_cmp_lt_f32_e64 s[26:27], 0, v29
	v_lshrrev_b32_e32 v25, 15, v25
	v_cndmask_b32_e64 v9, v9, v27, s[26:27]
	v_mul_u32_u24_e32 v27, 0xadc8, v25
	v_add_u32_e32 v24, -1, v6
	v_sub_u32_e32 v6, v6, v27
	v_mul_f32_e32 v26, 0x37800000, v9
	v_mul_lo_u32 v6, v6, s42
	v_cndmask_b32_e32 v9, v9, v26, vcc
	v_cmp_class_f32_e32 vcc, v7, v4
	v_cndmask_b32_e32 v7, v9, v7, vcc
	v_mul_u32_u24_e32 v25, 0xd47, v25
	v_cmp_nge_f32_e32 vcc, 1.0, v7
	v_xor_b32_e32 v26, 0x7fffffff, v25
	v_sub_u32_e32 v27, 0, v25
	v_cndmask_b32_e32 v5, v8, v5, vcc
	v_cmp_lt_u32_e32 vcc, v6, v25
	v_cndmask_b32_e32 v8, v27, v26, vcc
	v_add_u32_e32 v6, v8, v6
	v_add_u32_e32 v8, -1, v6
	v_cvt_f32_u32_e32 v8, v8
	v_cvt_f32_u32_e32 v24, v24
	v_add_f32_e32 v7, 1.0, v5
	v_fma_f32 v8, v8, s43, 0
	v_fma_f32 v24, v24, s43, 0
	v_mul_f32_e32 v8, v8, v8
	v_fmac_f32_e32 v8, v24, v24
	v_mul_f32_e32 v9, 0x4f800000, v8
	v_cmp_gt_f32_e32 vcc, s44, v8
	v_cndmask_b32_e32 v8, v8, v9, vcc
	v_sqrt_f32_e32 v9, v8
	v_add_u32_e32 v24, -1, v9
	v_add_u32_e32 v25, 1, v9
	v_fma_f32 v26, -v24, v9, v8
	v_fma_f32 v27, -v25, v9, v8
	v_cmp_ge_f32_e64 s[26:27], 0, v26
	v_cndmask_b32_e64 v9, v9, v24, s[26:27]
	v_cmp_lt_f32_e64 s[26:27], 0, v27
	v_cndmask_b32_e64 v9, v9, v25, s[26:27]
	v_mul_f32_e32 v24, 0x37800000, v9
	v_cndmask_b32_e32 v9, v9, v24, vcc
	v_cmp_class_f32_e32 vcc, v8, v4
	v_cndmask_b32_e32 v8, v9, v8, vcc
	v_cmp_nge_f32_e32 vcc, 1.0, v8
	v_cndmask_b32_e32 v5, v7, v5, vcc
	s_cbranch_scc1 .LBB31_959
; %bb.960:
	v_mul_f32_e32 v4, 4.0, v5
	s_mov_b32 s40, 0x459c4000
	v_div_scale_f32 v5, s[26:27], s40, s40, v4
	v_div_scale_f32 v6, vcc, v4, s40, v4
	v_rcp_f32_e32 v7, v5
	v_fma_f32 v8, -v5, v7, 1.0
	v_fmac_f32_e32 v7, v8, v7
	v_mul_f32_e32 v8, v6, v7
	v_fma_f32 v9, -v5, v8, v6
	v_fmac_f32_e32 v8, v9, v7
	v_fma_f32 v5, -v5, v8, v6
	v_div_fmas_f32 v5, v5, v7, v8
	v_div_fixup_f32 v24, v5, s40, v4
.LBB31_961:
	s_or_b64 exec, exec, s[28:29]
	v_add_u32_e32 v4, 0xb00, v12
	v_cmp_lt_u32_e64 s[26:27], v4, v10
                                        ; implicit-def: $vgpr25
	s_and_saveexec_b64 s[40:41], s[26:27]
	s_cbranch_execz .LBB31_981
; %bb.962:
	v_add_u32_e32 v4, v13, v4
	s_movk_i32 s28, 0x1388
	v_mul_lo_u32 v4, v4, s28
	v_mov_b32_e32 v6, 1
	v_cmp_ne_u32_e32 vcc, 0, v4
	s_and_saveexec_b64 s[28:29], vcc
	s_cbranch_execz .LBB31_978
; %bb.963:
	v_mov_b32_e32 v5, 0
	v_mov_b32_e32 v8, 1
	;; [unrolled: 1-line block ×3, first 2 shown]
	s_mov_b64 s[44:45], 0xbc8f
	v_mov_b32_e32 v9, 0
	s_mov_b64 s[42:43], 0
	s_brev_b32 s56, -2
	v_mov_b32_e32 v6, v4
	s_branch .LBB31_965
.LBB31_964:                             ;   in Loop: Header=BB31_965 Depth=1
	s_or_b64 exec, exec, s[46:47]
	s_mul_i32 s45, s44, s45
	s_mul_hi_u32 s46, s44, s44
	s_add_i32 s46, s46, s45
	s_add_i32 s46, s46, s45
	s_mul_i32 s47, s44, s44
	s_mul_i32 s45, s46, 3
	s_mul_hi_u32 s57, s47, 3
	s_mul_hi_u32 s44, s46, 3
	s_add_u32 s45, s45, s57
	s_addc_u32 s44, s44, 0
	s_mul_i32 s58, s47, 0x80000001
	s_mul_hi_u32 s57, s47, 0x80000001
	s_add_u32 s45, s58, s45
	s_addc_u32 s45, s57, 0
	s_add_u32 s44, s44, s45
	s_addc_u32 s45, 0, 0
	s_mul_i32 s58, s46, 0x80000001
	s_mul_hi_u32 s57, s46, 0x80000001
	s_add_u32 s44, s58, s44
	s_addc_u32 s45, s57, s45
	s_lshr_b32 s57, s45, 30
	s_lshr_b64 s[44:45], s[44:45], 30
	s_mul_i32 s57, s57, 0x7fffffff
	s_mul_hi_u32 s45, s44, 0x7fffffff
	v_lshrrev_b64 v[25:26], 1, v[6:7]
	s_add_i32 s45, s45, s57
	s_mul_i32 s44, s44, 0x7fffffff
	s_sub_u32 s44, s47, s44
	v_cmp_gt_u64_e32 vcc, 2, v[6:7]
	s_subb_u32 s45, s46, s45
	v_mov_b32_e32 v6, v25
	s_or_b64 s[42:43], vcc, s[42:43]
	v_mov_b32_e32 v7, v26
	s_andn2_b64 exec, exec, s[42:43]
	s_cbranch_execz .LBB31_977
.LBB31_965:                             ; =>This Inner Loop Header: Depth=1
	v_and_b32_e32 v4, 1, v6
	v_cmp_eq_u32_e32 vcc, 1, v4
	s_and_saveexec_b64 s[46:47], vcc
	s_cbranch_execz .LBB31_964
; %bb.966:                              ;   in Loop: Header=BB31_965 Depth=1
	v_mad_u64_u32 v[25:26], s[58:59], s44, v8, 0
	v_mul_lo_u32 v8, s45, v8
	v_mul_lo_u32 v9, s44, v9
	v_mul_hi_u32 v4, v25, 5
	v_add3_u32 v28, v26, v9, v8
	v_mad_u64_u32 v[8:9], s[58:59], v28, 5, v[4:5]
	v_mov_b32_e32 v4, v8
	v_mad_u64_u32 v[26:27], s[58:59], v25, 2, v[4:5]
	v_add_co_u32_e32 v8, vcc, v9, v27
	v_addc_co_u32_e64 v9, s[58:59], 0, 0, vcc
	v_mad_u64_u32 v[8:9], s[58:59], v28, 2, v[8:9]
	v_sub_co_u32_e32 v26, vcc, v25, v8
	v_subb_co_u32_e32 v27, vcc, v28, v9, vcc
	v_lshrrev_b64 v[26:27], 1, v[26:27]
	v_add_co_u32_e32 v4, vcc, v26, v8
	v_addc_co_u32_e32 v26, vcc, v27, v9, vcc
	v_alignbit_b32 v4, v26, v4, 30
	v_mad_u64_u32 v[8:9], s[58:59], v4, s56, 0
	v_lshrrev_b32_e32 v26, 30, v26
	v_mov_b32_e32 v4, v9
	v_mad_u64_u32 v[26:27], s[58:59], v26, s56, v[4:5]
	v_sub_co_u32_e32 v8, vcc, v25, v8
	v_subb_co_u32_e32 v9, vcc, v28, v26, vcc
	s_branch .LBB31_964
.LBB31_967:
	s_or_b64 exec, exec, s[42:43]
	v_add_u32_e32 v6, 0x80000001, v10
	v_min_u32_e32 v6, v6, v10
	v_add_u32_e32 v7, 0x80000001, v6
	v_min_u32_e32 v8, v7, v6
.LBB31_968:
	s_or_b64 exec, exec, s[28:29]
	v_mov_b32_e32 v7, 0
	s_movk_i32 s42, 0x1388
	s_mov_b32 s43, 0xbc8f1391
	s_mov_b32 s44, 0xbc8f
	s_brev_b32 s45, 12
	s_mov_b32 s46, 0xf800000
	v_mov_b32_e32 v6, 0x260
.LBB31_969:                             ; =>This Inner Loop Header: Depth=1
	v_mul_hi_u32 v9, v8, s43
	v_add_f32_e32 v10, 1.0, v7
	s_add_i32 s42, s42, -2
	s_cmp_lg_u32 s42, 0
	v_lshrrev_b32_e32 v9, 15, v9
	v_mul_u32_u24_e32 v11, 0xadc8, v9
	v_sub_u32_e32 v8, v8, v11
	v_mul_lo_u32 v8, v8, s44
	v_mul_u32_u24_e32 v9, 0xd47, v9
	v_xor_b32_e32 v11, 0x7fffffff, v9
	v_sub_u32_e32 v27, 0, v9
	v_cmp_lt_u32_e32 vcc, v8, v9
	v_cndmask_b32_e32 v9, v27, v11, vcc
	v_add_u32_e32 v8, v9, v8
	v_mul_hi_u32 v11, v8, s43
	v_add_u32_e32 v9, -1, v8
	v_cvt_f32_u32_e32 v9, v9
	v_lshrrev_b32_e32 v11, 15, v11
	v_mul_u32_u24_e32 v27, 0xadc8, v11
	v_sub_u32_e32 v8, v8, v27
	v_mul_lo_u32 v8, v8, s44
	v_mul_u32_u24_e32 v11, 0xd47, v11
	v_xor_b32_e32 v27, 0x7fffffff, v11
	v_sub_u32_e32 v33, 0, v11
	v_cmp_lt_u32_e32 vcc, v8, v11
	v_cndmask_b32_e32 v11, v33, v27, vcc
	v_add_u32_e32 v8, v11, v8
	v_mul_hi_u32 v27, v8, s43
	v_add_u32_e32 v11, -1, v8
	v_cvt_f32_u32_e32 v11, v11
	v_fma_f32 v9, v9, s45, 0
	v_lshrrev_b32_e32 v27, 15, v27
	v_mul_u32_u24_e32 v33, 0xadc8, v27
	v_fma_f32 v11, v11, s45, 0
	v_sub_u32_e32 v8, v8, v33
	v_mul_f32_e32 v11, v11, v11
	v_mul_lo_u32 v8, v8, s44
	v_fmac_f32_e32 v11, v9, v9
	v_mul_f32_e32 v9, 0x4f800000, v11
	v_cmp_gt_f32_e32 vcc, s46, v11
	v_mul_u32_u24_e32 v27, 0xd47, v27
	v_cndmask_b32_e32 v9, v11, v9, vcc
	v_xor_b32_e32 v33, 0x7fffffff, v27
	v_sub_u32_e32 v34, 0, v27
	v_sqrt_f32_e32 v11, v9
	v_cmp_lt_u32_e64 s[28:29], v8, v27
	v_cndmask_b32_e64 v27, v34, v33, s[28:29]
	v_add_u32_e32 v8, v27, v8
	v_mul_hi_u32 v33, v8, s43
	v_add_u32_e32 v34, -1, v11
	v_add_u32_e32 v35, 1, v11
	v_fma_f32 v36, -v34, v11, v9
	v_fma_f32 v37, -v35, v11, v9
	v_cmp_ge_f32_e64 s[28:29], 0, v36
	v_cndmask_b32_e64 v11, v11, v34, s[28:29]
	v_cmp_lt_f32_e64 s[28:29], 0, v37
	v_lshrrev_b32_e32 v33, 15, v33
	v_cndmask_b32_e64 v11, v11, v35, s[28:29]
	v_mul_u32_u24_e32 v35, 0xadc8, v33
	v_add_u32_e32 v27, -1, v8
	v_sub_u32_e32 v8, v8, v35
	v_mul_f32_e32 v34, 0x37800000, v11
	v_mul_lo_u32 v8, v8, s44
	v_cndmask_b32_e32 v11, v11, v34, vcc
	v_cmp_class_f32_e32 vcc, v9, v6
	v_cndmask_b32_e32 v9, v11, v9, vcc
	v_mul_u32_u24_e32 v33, 0xd47, v33
	v_cmp_nge_f32_e32 vcc, 1.0, v9
	v_xor_b32_e32 v34, 0x7fffffff, v33
	v_sub_u32_e32 v35, 0, v33
	v_cndmask_b32_e32 v7, v10, v7, vcc
	v_cmp_lt_u32_e32 vcc, v8, v33
	v_cndmask_b32_e32 v10, v35, v34, vcc
	v_add_u32_e32 v8, v10, v8
	v_add_u32_e32 v10, -1, v8
	v_cvt_f32_u32_e32 v10, v10
	v_cvt_f32_u32_e32 v27, v27
	v_add_f32_e32 v9, 1.0, v7
	v_fma_f32 v10, v10, s45, 0
	v_fma_f32 v27, v27, s45, 0
	v_mul_f32_e32 v10, v10, v10
	v_fmac_f32_e32 v10, v27, v27
	v_mul_f32_e32 v11, 0x4f800000, v10
	v_cmp_gt_f32_e32 vcc, s46, v10
	v_cndmask_b32_e32 v10, v10, v11, vcc
	v_sqrt_f32_e32 v11, v10
	v_add_u32_e32 v27, -1, v11
	v_add_u32_e32 v33, 1, v11
	v_fma_f32 v34, -v27, v11, v10
	v_fma_f32 v35, -v33, v11, v10
	v_cmp_ge_f32_e64 s[28:29], 0, v34
	v_cndmask_b32_e64 v11, v11, v27, s[28:29]
	v_cmp_lt_f32_e64 s[28:29], 0, v35
	v_cndmask_b32_e64 v11, v11, v33, s[28:29]
	v_mul_f32_e32 v27, 0x37800000, v11
	v_cndmask_b32_e32 v11, v11, v27, vcc
	v_cmp_class_f32_e32 vcc, v10, v6
	v_cndmask_b32_e32 v10, v11, v10, vcc
	v_cmp_nge_f32_e32 vcc, 1.0, v10
	v_cndmask_b32_e32 v7, v9, v7, vcc
	s_cbranch_scc1 .LBB31_969
; %bb.970:
	v_mul_f32_e32 v6, 4.0, v7
	s_mov_b32 s42, 0x459c4000
	v_div_scale_f32 v7, s[28:29], s42, s42, v6
	v_div_scale_f32 v8, vcc, v6, s42, v6
	v_rcp_f32_e32 v9, v7
	v_fma_f32 v10, -v7, v9, 1.0
	v_fmac_f32_e32 v9, v10, v9
	v_mul_f32_e32 v10, v8, v9
	v_fma_f32 v11, -v7, v10, v8
	v_fmac_f32_e32 v10, v11, v9
	v_fma_f32 v7, -v7, v10, v8
	v_div_fmas_f32 v7, v7, v9, v10
	v_div_fixup_f32 v27, v7, s42, v6
.LBB31_971:
	s_or_b64 exec, exec, s[40:41]
	v_or_b32_e32 v6, 0xc00, v14
	v_cmp_lt_u32_e64 s[28:29], v6, v12
	s_and_saveexec_b64 s[42:43], s[28:29]
	s_cbranch_execz .LBB31_991
; %bb.972:
	v_add_u32_e32 v6, v15, v6
	s_movk_i32 s40, 0x1388
	v_mul_lo_u32 v6, v6, s40
	v_mov_b32_e32 v8, 1
	v_cmp_ne_u32_e32 vcc, 0, v6
	s_and_saveexec_b64 s[40:41], vcc
	s_cbranch_execz .LBB31_988
; %bb.973:
	v_mov_b32_e32 v7, 0
	v_mov_b32_e32 v10, 1
	;; [unrolled: 1-line block ×3, first 2 shown]
	s_mov_b64 s[46:47], 0xbc8f
	v_mov_b32_e32 v11, 0
	s_mov_b64 s[44:45], 0
	s_brev_b32 s62, -2
	v_mov_b32_e32 v8, v6
	s_branch .LBB31_975
.LBB31_974:                             ;   in Loop: Header=BB31_975 Depth=1
	s_or_b64 exec, exec, s[60:61]
	s_mul_i32 s47, s46, s47
	s_mul_hi_u32 s60, s46, s46
	s_add_i32 s60, s60, s47
	s_add_i32 s60, s60, s47
	s_mul_i32 s61, s46, s46
	s_mul_i32 s47, s60, 3
	s_mul_hi_u32 s63, s61, 3
	s_mul_hi_u32 s46, s60, 3
	s_add_u32 s47, s47, s63
	s_addc_u32 s46, s46, 0
	s_mul_i32 s72, s61, 0x80000001
	s_mul_hi_u32 s63, s61, 0x80000001
	s_add_u32 s47, s72, s47
	s_addc_u32 s47, s63, 0
	s_add_u32 s46, s46, s47
	s_addc_u32 s47, 0, 0
	s_mul_i32 s72, s60, 0x80000001
	s_mul_hi_u32 s63, s60, 0x80000001
	s_add_u32 s46, s72, s46
	s_addc_u32 s47, s63, s47
	s_lshr_b32 s63, s47, 30
	s_lshr_b64 s[46:47], s[46:47], 30
	s_mul_i32 s63, s63, 0x7fffffff
	s_mul_hi_u32 s47, s46, 0x7fffffff
	v_lshrrev_b64 v[33:34], 1, v[8:9]
	s_add_i32 s47, s47, s63
	s_mul_i32 s46, s46, 0x7fffffff
	s_sub_u32 s46, s61, s46
	v_cmp_gt_u64_e32 vcc, 2, v[8:9]
	s_subb_u32 s47, s60, s47
	v_mov_b32_e32 v8, v33
	s_or_b64 s[44:45], vcc, s[44:45]
	v_mov_b32_e32 v9, v34
	s_andn2_b64 exec, exec, s[44:45]
	s_cbranch_execz .LBB31_987
.LBB31_975:                             ; =>This Inner Loop Header: Depth=1
	v_and_b32_e32 v6, 1, v8
	v_cmp_eq_u32_e32 vcc, 1, v6
	s_and_saveexec_b64 s[60:61], vcc
	s_cbranch_execz .LBB31_974
; %bb.976:                              ;   in Loop: Header=BB31_975 Depth=1
	v_mad_u64_u32 v[33:34], s[72:73], s46, v10, 0
	v_mul_lo_u32 v10, s47, v10
	v_mul_lo_u32 v11, s46, v11
	v_mul_hi_u32 v6, v33, 5
	v_add3_u32 v28, v34, v11, v10
	v_mad_u64_u32 v[10:11], s[72:73], v28, 5, v[6:7]
	v_mov_b32_e32 v6, v10
	v_mad_u64_u32 v[34:35], s[72:73], v33, 2, v[6:7]
	v_add_co_u32_e32 v10, vcc, v11, v35
	v_addc_co_u32_e64 v11, s[72:73], 0, 0, vcc
	v_mad_u64_u32 v[10:11], s[72:73], v28, 2, v[10:11]
	v_sub_co_u32_e32 v34, vcc, v33, v10
	v_subb_co_u32_e32 v35, vcc, v28, v11, vcc
	v_lshrrev_b64 v[34:35], 1, v[34:35]
	v_add_co_u32_e32 v6, vcc, v34, v10
	v_addc_co_u32_e32 v34, vcc, v35, v11, vcc
	v_alignbit_b32 v6, v34, v6, 30
	v_mad_u64_u32 v[10:11], s[72:73], v6, s62, 0
	v_lshrrev_b32_e32 v34, 30, v34
	v_mov_b32_e32 v6, v11
	v_mad_u64_u32 v[34:35], s[72:73], v34, s62, v[6:7]
	v_sub_co_u32_e32 v10, vcc, v33, v10
	v_subb_co_u32_e32 v11, vcc, v28, v34, vcc
	s_branch .LBB31_974
.LBB31_977:
	s_or_b64 exec, exec, s[42:43]
	v_add_u32_e32 v4, 0x80000001, v8
	v_min_u32_e32 v4, v4, v8
	v_add_u32_e32 v5, 0x80000001, v4
	v_min_u32_e32 v6, v5, v4
.LBB31_978:
	s_or_b64 exec, exec, s[28:29]
	v_mov_b32_e32 v5, 0
	s_movk_i32 s42, 0x1388
	s_mov_b32 s43, 0xbc8f1391
	s_mov_b32 s44, 0xbc8f
	s_brev_b32 s45, 12
	s_mov_b32 s46, 0xf800000
	v_mov_b32_e32 v4, 0x260
.LBB31_979:                             ; =>This Inner Loop Header: Depth=1
	v_mul_hi_u32 v7, v6, s43
	v_add_f32_e32 v8, 1.0, v5
	s_add_i32 s42, s42, -2
	s_cmp_lg_u32 s42, 0
	v_lshrrev_b32_e32 v7, 15, v7
	v_mul_u32_u24_e32 v9, 0xadc8, v7
	v_sub_u32_e32 v6, v6, v9
	v_mul_lo_u32 v6, v6, s44
	v_mul_u32_u24_e32 v7, 0xd47, v7
	v_xor_b32_e32 v9, 0x7fffffff, v7
	v_sub_u32_e32 v25, 0, v7
	v_cmp_lt_u32_e32 vcc, v6, v7
	v_cndmask_b32_e32 v7, v25, v9, vcc
	v_add_u32_e32 v6, v7, v6
	v_mul_hi_u32 v9, v6, s43
	v_add_u32_e32 v7, -1, v6
	v_cvt_f32_u32_e32 v7, v7
	v_lshrrev_b32_e32 v9, 15, v9
	v_mul_u32_u24_e32 v25, 0xadc8, v9
	v_sub_u32_e32 v6, v6, v25
	v_mul_lo_u32 v6, v6, s44
	v_mul_u32_u24_e32 v9, 0xd47, v9
	v_xor_b32_e32 v25, 0x7fffffff, v9
	v_sub_u32_e32 v26, 0, v9
	v_cmp_lt_u32_e32 vcc, v6, v9
	v_cndmask_b32_e32 v9, v26, v25, vcc
	v_add_u32_e32 v6, v9, v6
	v_mul_hi_u32 v25, v6, s43
	v_add_u32_e32 v9, -1, v6
	v_cvt_f32_u32_e32 v9, v9
	v_fma_f32 v7, v7, s45, 0
	v_lshrrev_b32_e32 v25, 15, v25
	v_mul_u32_u24_e32 v26, 0xadc8, v25
	v_fma_f32 v9, v9, s45, 0
	v_sub_u32_e32 v6, v6, v26
	v_mul_f32_e32 v9, v9, v9
	v_mul_lo_u32 v6, v6, s44
	v_fmac_f32_e32 v9, v7, v7
	v_mul_f32_e32 v7, 0x4f800000, v9
	v_cmp_gt_f32_e32 vcc, s46, v9
	v_mul_u32_u24_e32 v25, 0xd47, v25
	v_cndmask_b32_e32 v7, v9, v7, vcc
	v_xor_b32_e32 v26, 0x7fffffff, v25
	v_sub_u32_e32 v27, 0, v25
	v_sqrt_f32_e32 v9, v7
	v_cmp_lt_u32_e64 s[28:29], v6, v25
	v_cndmask_b32_e64 v25, v27, v26, s[28:29]
	v_add_u32_e32 v6, v25, v6
	v_mul_hi_u32 v26, v6, s43
	v_add_u32_e32 v27, -1, v9
	v_add_u32_e32 v28, 1, v9
	v_fma_f32 v29, -v27, v9, v7
	v_fma_f32 v30, -v28, v9, v7
	v_cmp_ge_f32_e64 s[28:29], 0, v29
	v_cndmask_b32_e64 v9, v9, v27, s[28:29]
	v_cmp_lt_f32_e64 s[28:29], 0, v30
	v_lshrrev_b32_e32 v26, 15, v26
	v_cndmask_b32_e64 v9, v9, v28, s[28:29]
	v_mul_u32_u24_e32 v28, 0xadc8, v26
	v_add_u32_e32 v25, -1, v6
	v_sub_u32_e32 v6, v6, v28
	v_mul_f32_e32 v27, 0x37800000, v9
	v_mul_lo_u32 v6, v6, s44
	v_cndmask_b32_e32 v9, v9, v27, vcc
	v_cmp_class_f32_e32 vcc, v7, v4
	v_cndmask_b32_e32 v7, v9, v7, vcc
	v_mul_u32_u24_e32 v26, 0xd47, v26
	v_cmp_nge_f32_e32 vcc, 1.0, v7
	v_xor_b32_e32 v27, 0x7fffffff, v26
	v_sub_u32_e32 v28, 0, v26
	v_cndmask_b32_e32 v5, v8, v5, vcc
	v_cmp_lt_u32_e32 vcc, v6, v26
	v_cndmask_b32_e32 v8, v28, v27, vcc
	v_add_u32_e32 v6, v8, v6
	v_add_u32_e32 v8, -1, v6
	v_cvt_f32_u32_e32 v8, v8
	v_cvt_f32_u32_e32 v25, v25
	v_add_f32_e32 v7, 1.0, v5
	v_fma_f32 v8, v8, s45, 0
	v_fma_f32 v25, v25, s45, 0
	v_mul_f32_e32 v8, v8, v8
	v_fmac_f32_e32 v8, v25, v25
	v_mul_f32_e32 v9, 0x4f800000, v8
	v_cmp_gt_f32_e32 vcc, s46, v8
	v_cndmask_b32_e32 v8, v8, v9, vcc
	v_sqrt_f32_e32 v9, v8
	v_add_u32_e32 v25, -1, v9
	v_add_u32_e32 v26, 1, v9
	v_fma_f32 v27, -v25, v9, v8
	v_fma_f32 v28, -v26, v9, v8
	v_cmp_ge_f32_e64 s[28:29], 0, v27
	v_cndmask_b32_e64 v9, v9, v25, s[28:29]
	v_cmp_lt_f32_e64 s[28:29], 0, v28
	v_cndmask_b32_e64 v9, v9, v26, s[28:29]
	v_mul_f32_e32 v25, 0x37800000, v9
	v_cndmask_b32_e32 v9, v9, v25, vcc
	v_cmp_class_f32_e32 vcc, v8, v4
	v_cndmask_b32_e32 v8, v9, v8, vcc
	v_cmp_nge_f32_e32 vcc, 1.0, v8
	v_cndmask_b32_e32 v5, v7, v5, vcc
	s_cbranch_scc1 .LBB31_979
; %bb.980:
	v_mul_f32_e32 v4, 4.0, v5
	s_mov_b32 s42, 0x459c4000
	v_div_scale_f32 v5, s[28:29], s42, s42, v4
	v_div_scale_f32 v6, vcc, v4, s42, v4
	v_rcp_f32_e32 v7, v5
	v_fma_f32 v8, -v5, v7, 1.0
	v_fmac_f32_e32 v7, v8, v7
	v_mul_f32_e32 v8, v6, v7
	v_fma_f32 v9, -v5, v8, v6
	v_fmac_f32_e32 v8, v9, v7
	v_fma_f32 v5, -v5, v8, v6
	v_div_fmas_f32 v5, v5, v7, v8
	v_div_fixup_f32 v25, v5, s42, v4
.LBB31_981:
	s_or_b64 exec, exec, s[40:41]
	v_or_b32_e32 v4, 0xc00, v12
	v_cmp_lt_u32_e64 s[28:29], v4, v10
                                        ; implicit-def: $vgpr26
	s_and_saveexec_b64 s[42:43], s[28:29]
	s_cbranch_execz .LBB31_1001
; %bb.982:
	v_add_u32_e32 v4, v13, v4
	s_movk_i32 s40, 0x1388
	v_mul_lo_u32 v4, v4, s40
	v_mov_b32_e32 v6, 1
	v_cmp_ne_u32_e32 vcc, 0, v4
	s_and_saveexec_b64 s[40:41], vcc
	s_cbranch_execz .LBB31_998
; %bb.983:
	v_mov_b32_e32 v5, 0
	v_mov_b32_e32 v8, 1
	;; [unrolled: 1-line block ×3, first 2 shown]
	s_mov_b64 s[46:47], 0xbc8f
	v_mov_b32_e32 v9, 0
	s_mov_b64 s[44:45], 0
	s_brev_b32 s58, -2
	v_mov_b32_e32 v6, v4
	s_branch .LBB31_985
.LBB31_984:                             ;   in Loop: Header=BB31_985 Depth=1
	s_or_b64 exec, exec, s[56:57]
	s_mul_i32 s47, s46, s47
	s_mul_hi_u32 s56, s46, s46
	s_add_i32 s56, s56, s47
	s_add_i32 s56, s56, s47
	s_mul_i32 s57, s46, s46
	s_mul_i32 s47, s56, 3
	s_mul_hi_u32 s59, s57, 3
	s_mul_hi_u32 s46, s56, 3
	s_add_u32 s47, s47, s59
	s_addc_u32 s46, s46, 0
	s_mul_i32 s60, s57, 0x80000001
	s_mul_hi_u32 s59, s57, 0x80000001
	s_add_u32 s47, s60, s47
	s_addc_u32 s47, s59, 0
	s_add_u32 s46, s46, s47
	s_addc_u32 s47, 0, 0
	s_mul_i32 s60, s56, 0x80000001
	s_mul_hi_u32 s59, s56, 0x80000001
	s_add_u32 s46, s60, s46
	s_addc_u32 s47, s59, s47
	s_lshr_b32 s59, s47, 30
	s_lshr_b64 s[46:47], s[46:47], 30
	s_mul_i32 s59, s59, 0x7fffffff
	s_mul_hi_u32 s47, s46, 0x7fffffff
	v_lshrrev_b64 v[26:27], 1, v[6:7]
	s_add_i32 s47, s47, s59
	s_mul_i32 s46, s46, 0x7fffffff
	s_sub_u32 s46, s57, s46
	v_cmp_gt_u64_e32 vcc, 2, v[6:7]
	s_subb_u32 s47, s56, s47
	v_mov_b32_e32 v6, v26
	s_or_b64 s[44:45], vcc, s[44:45]
	v_mov_b32_e32 v7, v27
	s_andn2_b64 exec, exec, s[44:45]
	s_cbranch_execz .LBB31_997
.LBB31_985:                             ; =>This Inner Loop Header: Depth=1
	v_and_b32_e32 v4, 1, v6
	v_cmp_eq_u32_e32 vcc, 1, v4
	s_and_saveexec_b64 s[56:57], vcc
	s_cbranch_execz .LBB31_984
; %bb.986:                              ;   in Loop: Header=BB31_985 Depth=1
	v_mad_u64_u32 v[26:27], s[60:61], s46, v8, 0
	v_mul_lo_u32 v8, s47, v8
	v_mul_lo_u32 v9, s46, v9
	v_mul_hi_u32 v4, v26, 5
	v_add3_u32 v29, v27, v9, v8
	v_mad_u64_u32 v[8:9], s[60:61], v29, 5, v[4:5]
	v_mov_b32_e32 v4, v8
	v_mad_u64_u32 v[27:28], s[60:61], v26, 2, v[4:5]
	v_add_co_u32_e32 v8, vcc, v9, v28
	v_addc_co_u32_e64 v9, s[60:61], 0, 0, vcc
	v_mad_u64_u32 v[8:9], s[60:61], v29, 2, v[8:9]
	v_sub_co_u32_e32 v27, vcc, v26, v8
	v_subb_co_u32_e32 v28, vcc, v29, v9, vcc
	v_lshrrev_b64 v[27:28], 1, v[27:28]
	v_add_co_u32_e32 v4, vcc, v27, v8
	v_addc_co_u32_e32 v27, vcc, v28, v9, vcc
	v_alignbit_b32 v4, v27, v4, 30
	v_mad_u64_u32 v[8:9], s[60:61], v4, s58, 0
	v_lshrrev_b32_e32 v27, 30, v27
	v_mov_b32_e32 v4, v9
	v_mad_u64_u32 v[27:28], s[60:61], v27, s58, v[4:5]
	v_sub_co_u32_e32 v8, vcc, v26, v8
	v_subb_co_u32_e32 v9, vcc, v29, v27, vcc
	s_branch .LBB31_984
.LBB31_987:
	s_or_b64 exec, exec, s[44:45]
	v_add_u32_e32 v6, 0x80000001, v10
	v_min_u32_e32 v6, v6, v10
	v_add_u32_e32 v7, 0x80000001, v6
	v_min_u32_e32 v8, v7, v6
.LBB31_988:
	s_or_b64 exec, exec, s[40:41]
	v_mov_b32_e32 v7, 0
	s_movk_i32 s44, 0x1388
	s_mov_b32 s45, 0xbc8f1391
	s_mov_b32 s46, 0xbc8f
	s_brev_b32 s47, 12
	s_mov_b32 s60, 0xf800000
	v_mov_b32_e32 v6, 0x260
.LBB31_989:                             ; =>This Inner Loop Header: Depth=1
	v_mul_hi_u32 v9, v8, s45
	v_add_f32_e32 v10, 1.0, v7
	s_add_i32 s44, s44, -2
	s_cmp_lg_u32 s44, 0
	v_lshrrev_b32_e32 v9, 15, v9
	v_mul_u32_u24_e32 v11, 0xadc8, v9
	v_sub_u32_e32 v8, v8, v11
	v_mul_lo_u32 v8, v8, s46
	v_mul_u32_u24_e32 v9, 0xd47, v9
	v_xor_b32_e32 v11, 0x7fffffff, v9
	v_sub_u32_e32 v28, 0, v9
	v_cmp_lt_u32_e32 vcc, v8, v9
	v_cndmask_b32_e32 v9, v28, v11, vcc
	v_add_u32_e32 v8, v9, v8
	v_mul_hi_u32 v11, v8, s45
	v_add_u32_e32 v9, -1, v8
	v_cvt_f32_u32_e32 v9, v9
	v_lshrrev_b32_e32 v11, 15, v11
	v_mul_u32_u24_e32 v28, 0xadc8, v11
	v_sub_u32_e32 v8, v8, v28
	v_mul_lo_u32 v8, v8, s46
	v_mul_u32_u24_e32 v11, 0xd47, v11
	v_xor_b32_e32 v28, 0x7fffffff, v11
	v_sub_u32_e32 v33, 0, v11
	v_cmp_lt_u32_e32 vcc, v8, v11
	v_cndmask_b32_e32 v11, v33, v28, vcc
	v_add_u32_e32 v8, v11, v8
	v_mul_hi_u32 v28, v8, s45
	v_add_u32_e32 v11, -1, v8
	v_cvt_f32_u32_e32 v11, v11
	v_fma_f32 v9, v9, s47, 0
	v_lshrrev_b32_e32 v28, 15, v28
	v_mul_u32_u24_e32 v33, 0xadc8, v28
	v_fma_f32 v11, v11, s47, 0
	v_sub_u32_e32 v8, v8, v33
	v_mul_f32_e32 v11, v11, v11
	v_mul_lo_u32 v8, v8, s46
	v_fmac_f32_e32 v11, v9, v9
	v_mul_f32_e32 v9, 0x4f800000, v11
	v_cmp_gt_f32_e32 vcc, s60, v11
	v_mul_u32_u24_e32 v28, 0xd47, v28
	v_cndmask_b32_e32 v9, v11, v9, vcc
	v_xor_b32_e32 v33, 0x7fffffff, v28
	v_sub_u32_e32 v34, 0, v28
	v_sqrt_f32_e32 v11, v9
	v_cmp_lt_u32_e64 s[40:41], v8, v28
	v_cndmask_b32_e64 v28, v34, v33, s[40:41]
	v_add_u32_e32 v8, v28, v8
	v_mul_hi_u32 v33, v8, s45
	v_add_u32_e32 v34, -1, v11
	v_add_u32_e32 v35, 1, v11
	v_fma_f32 v36, -v34, v11, v9
	v_fma_f32 v37, -v35, v11, v9
	v_cmp_ge_f32_e64 s[40:41], 0, v36
	v_cndmask_b32_e64 v11, v11, v34, s[40:41]
	v_cmp_lt_f32_e64 s[40:41], 0, v37
	v_lshrrev_b32_e32 v33, 15, v33
	v_cndmask_b32_e64 v11, v11, v35, s[40:41]
	v_mul_u32_u24_e32 v35, 0xadc8, v33
	v_add_u32_e32 v28, -1, v8
	v_sub_u32_e32 v8, v8, v35
	v_mul_f32_e32 v34, 0x37800000, v11
	v_mul_lo_u32 v8, v8, s46
	v_cndmask_b32_e32 v11, v11, v34, vcc
	v_cmp_class_f32_e32 vcc, v9, v6
	v_cndmask_b32_e32 v9, v11, v9, vcc
	v_mul_u32_u24_e32 v33, 0xd47, v33
	v_cmp_nge_f32_e32 vcc, 1.0, v9
	v_xor_b32_e32 v34, 0x7fffffff, v33
	v_sub_u32_e32 v35, 0, v33
	v_cndmask_b32_e32 v7, v10, v7, vcc
	v_cmp_lt_u32_e32 vcc, v8, v33
	v_cndmask_b32_e32 v10, v35, v34, vcc
	v_add_u32_e32 v8, v10, v8
	v_add_u32_e32 v10, -1, v8
	v_cvt_f32_u32_e32 v10, v10
	v_cvt_f32_u32_e32 v28, v28
	v_add_f32_e32 v9, 1.0, v7
	v_fma_f32 v10, v10, s47, 0
	v_fma_f32 v28, v28, s47, 0
	v_mul_f32_e32 v10, v10, v10
	v_fmac_f32_e32 v10, v28, v28
	v_mul_f32_e32 v11, 0x4f800000, v10
	v_cmp_gt_f32_e32 vcc, s60, v10
	v_cndmask_b32_e32 v10, v10, v11, vcc
	v_sqrt_f32_e32 v11, v10
	v_add_u32_e32 v28, -1, v11
	v_add_u32_e32 v33, 1, v11
	v_fma_f32 v34, -v28, v11, v10
	v_fma_f32 v35, -v33, v11, v10
	v_cmp_ge_f32_e64 s[40:41], 0, v34
	v_cndmask_b32_e64 v11, v11, v28, s[40:41]
	v_cmp_lt_f32_e64 s[40:41], 0, v35
	v_cndmask_b32_e64 v11, v11, v33, s[40:41]
	v_mul_f32_e32 v28, 0x37800000, v11
	v_cndmask_b32_e32 v11, v11, v28, vcc
	v_cmp_class_f32_e32 vcc, v10, v6
	v_cndmask_b32_e32 v10, v11, v10, vcc
	v_cmp_nge_f32_e32 vcc, 1.0, v10
	v_cndmask_b32_e32 v7, v9, v7, vcc
	s_cbranch_scc1 .LBB31_989
; %bb.990:
	v_mul_f32_e32 v6, 4.0, v7
	s_mov_b32 s44, 0x459c4000
	v_div_scale_f32 v7, s[40:41], s44, s44, v6
	v_div_scale_f32 v8, vcc, v6, s44, v6
	v_rcp_f32_e32 v9, v7
	v_fma_f32 v10, -v7, v9, 1.0
	v_fmac_f32_e32 v9, v10, v9
	v_mul_f32_e32 v10, v8, v9
	v_fma_f32 v11, -v7, v10, v8
	v_fmac_f32_e32 v10, v11, v9
	v_fma_f32 v7, -v7, v10, v8
	v_div_fmas_f32 v7, v7, v9, v10
	v_div_fixup_f32 v28, v7, s44, v6
.LBB31_991:
	s_or_b64 exec, exec, s[42:43]
	v_add_u32_e32 v6, 0xd00, v14
	v_cmp_lt_u32_e64 s[40:41], v6, v12
	s_and_saveexec_b64 s[44:45], s[40:41]
	s_cbranch_execz .LBB31_1011
; %bb.992:
	v_add_u32_e32 v6, v15, v6
	s_movk_i32 s42, 0x1388
	v_mul_lo_u32 v6, v6, s42
	v_mov_b32_e32 v8, 1
	v_cmp_ne_u32_e32 vcc, 0, v6
	s_and_saveexec_b64 s[42:43], vcc
	s_cbranch_execz .LBB31_1008
; %bb.993:
	v_mov_b32_e32 v7, 0
	v_mov_b32_e32 v10, 1
	;; [unrolled: 1-line block ×3, first 2 shown]
	s_mov_b64 s[60:61], 0xbc8f
	v_mov_b32_e32 v11, 0
	s_mov_b64 s[46:47], 0
	s_brev_b32 s72, -2
	v_mov_b32_e32 v8, v6
	s_branch .LBB31_995
.LBB31_994:                             ;   in Loop: Header=BB31_995 Depth=1
	s_or_b64 exec, exec, s[62:63]
	s_mul_i32 s61, s60, s61
	s_mul_hi_u32 s62, s60, s60
	s_add_i32 s62, s62, s61
	s_add_i32 s62, s62, s61
	s_mul_i32 s63, s60, s60
	s_mul_i32 s61, s62, 3
	s_mul_hi_u32 s73, s63, 3
	s_mul_hi_u32 s60, s62, 3
	s_add_u32 s61, s61, s73
	s_addc_u32 s60, s60, 0
	s_mul_i32 s74, s63, 0x80000001
	s_mul_hi_u32 s73, s63, 0x80000001
	s_add_u32 s61, s74, s61
	s_addc_u32 s61, s73, 0
	s_add_u32 s60, s60, s61
	s_addc_u32 s61, 0, 0
	s_mul_i32 s74, s62, 0x80000001
	s_mul_hi_u32 s73, s62, 0x80000001
	s_add_u32 s60, s74, s60
	s_addc_u32 s61, s73, s61
	s_lshr_b32 s73, s61, 30
	s_lshr_b64 s[60:61], s[60:61], 30
	s_mul_i32 s73, s73, 0x7fffffff
	s_mul_hi_u32 s61, s60, 0x7fffffff
	v_lshrrev_b64 v[33:34], 1, v[8:9]
	s_add_i32 s61, s61, s73
	s_mul_i32 s60, s60, 0x7fffffff
	s_sub_u32 s60, s63, s60
	v_cmp_gt_u64_e32 vcc, 2, v[8:9]
	s_subb_u32 s61, s62, s61
	v_mov_b32_e32 v8, v33
	s_or_b64 s[46:47], vcc, s[46:47]
	v_mov_b32_e32 v9, v34
	s_andn2_b64 exec, exec, s[46:47]
	s_cbranch_execz .LBB31_1007
.LBB31_995:                             ; =>This Inner Loop Header: Depth=1
	v_and_b32_e32 v6, 1, v8
	v_cmp_eq_u32_e32 vcc, 1, v6
	s_and_saveexec_b64 s[62:63], vcc
	s_cbranch_execz .LBB31_994
; %bb.996:                              ;   in Loop: Header=BB31_995 Depth=1
	v_mad_u64_u32 v[33:34], s[74:75], s60, v10, 0
	v_mul_lo_u32 v10, s61, v10
	v_mul_lo_u32 v11, s60, v11
	v_mul_hi_u32 v6, v33, 5
	v_add3_u32 v29, v34, v11, v10
	v_mad_u64_u32 v[10:11], s[74:75], v29, 5, v[6:7]
	v_mov_b32_e32 v6, v10
	v_mad_u64_u32 v[34:35], s[74:75], v33, 2, v[6:7]
	v_add_co_u32_e32 v10, vcc, v11, v35
	v_addc_co_u32_e64 v11, s[74:75], 0, 0, vcc
	v_mad_u64_u32 v[10:11], s[74:75], v29, 2, v[10:11]
	v_sub_co_u32_e32 v34, vcc, v33, v10
	v_subb_co_u32_e32 v35, vcc, v29, v11, vcc
	v_lshrrev_b64 v[34:35], 1, v[34:35]
	v_add_co_u32_e32 v6, vcc, v34, v10
	v_addc_co_u32_e32 v34, vcc, v35, v11, vcc
	v_alignbit_b32 v6, v34, v6, 30
	v_mad_u64_u32 v[10:11], s[74:75], v6, s72, 0
	v_lshrrev_b32_e32 v34, 30, v34
	v_mov_b32_e32 v6, v11
	v_mad_u64_u32 v[34:35], s[74:75], v34, s72, v[6:7]
	v_sub_co_u32_e32 v10, vcc, v33, v10
	v_subb_co_u32_e32 v11, vcc, v29, v34, vcc
	s_branch .LBB31_994
.LBB31_997:
	s_or_b64 exec, exec, s[44:45]
	v_add_u32_e32 v4, 0x80000001, v8
	v_min_u32_e32 v4, v4, v8
	v_add_u32_e32 v5, 0x80000001, v4
	v_min_u32_e32 v6, v5, v4
.LBB31_998:
	s_or_b64 exec, exec, s[40:41]
	v_mov_b32_e32 v5, 0
	s_movk_i32 s44, 0x1388
	s_mov_b32 s45, 0xbc8f1391
	s_mov_b32 s46, 0xbc8f
	s_brev_b32 s47, 12
	s_mov_b32 s56, 0xf800000
	v_mov_b32_e32 v4, 0x260
.LBB31_999:                             ; =>This Inner Loop Header: Depth=1
	v_mul_hi_u32 v7, v6, s45
	v_add_f32_e32 v8, 1.0, v5
	s_add_i32 s44, s44, -2
	s_cmp_lg_u32 s44, 0
	v_lshrrev_b32_e32 v7, 15, v7
	v_mul_u32_u24_e32 v9, 0xadc8, v7
	v_sub_u32_e32 v6, v6, v9
	v_mul_lo_u32 v6, v6, s46
	v_mul_u32_u24_e32 v7, 0xd47, v7
	v_xor_b32_e32 v9, 0x7fffffff, v7
	v_sub_u32_e32 v26, 0, v7
	v_cmp_lt_u32_e32 vcc, v6, v7
	v_cndmask_b32_e32 v7, v26, v9, vcc
	v_add_u32_e32 v6, v7, v6
	v_mul_hi_u32 v9, v6, s45
	v_add_u32_e32 v7, -1, v6
	v_cvt_f32_u32_e32 v7, v7
	v_lshrrev_b32_e32 v9, 15, v9
	v_mul_u32_u24_e32 v26, 0xadc8, v9
	v_sub_u32_e32 v6, v6, v26
	v_mul_lo_u32 v6, v6, s46
	v_mul_u32_u24_e32 v9, 0xd47, v9
	v_xor_b32_e32 v26, 0x7fffffff, v9
	v_sub_u32_e32 v27, 0, v9
	v_cmp_lt_u32_e32 vcc, v6, v9
	v_cndmask_b32_e32 v9, v27, v26, vcc
	v_add_u32_e32 v6, v9, v6
	v_mul_hi_u32 v26, v6, s45
	v_add_u32_e32 v9, -1, v6
	v_cvt_f32_u32_e32 v9, v9
	v_fma_f32 v7, v7, s47, 0
	v_lshrrev_b32_e32 v26, 15, v26
	v_mul_u32_u24_e32 v27, 0xadc8, v26
	v_fma_f32 v9, v9, s47, 0
	v_sub_u32_e32 v6, v6, v27
	v_mul_f32_e32 v9, v9, v9
	v_mul_lo_u32 v6, v6, s46
	v_fmac_f32_e32 v9, v7, v7
	v_mul_f32_e32 v7, 0x4f800000, v9
	v_cmp_gt_f32_e32 vcc, s56, v9
	v_mul_u32_u24_e32 v26, 0xd47, v26
	v_cndmask_b32_e32 v7, v9, v7, vcc
	v_xor_b32_e32 v27, 0x7fffffff, v26
	v_sub_u32_e32 v28, 0, v26
	v_sqrt_f32_e32 v9, v7
	v_cmp_lt_u32_e64 s[40:41], v6, v26
	v_cndmask_b32_e64 v26, v28, v27, s[40:41]
	v_add_u32_e32 v6, v26, v6
	v_mul_hi_u32 v27, v6, s45
	v_add_u32_e32 v28, -1, v9
	v_add_u32_e32 v29, 1, v9
	v_fma_f32 v30, -v28, v9, v7
	v_fma_f32 v31, -v29, v9, v7
	v_cmp_ge_f32_e64 s[40:41], 0, v30
	v_cndmask_b32_e64 v9, v9, v28, s[40:41]
	v_cmp_lt_f32_e64 s[40:41], 0, v31
	v_lshrrev_b32_e32 v27, 15, v27
	v_cndmask_b32_e64 v9, v9, v29, s[40:41]
	v_mul_u32_u24_e32 v29, 0xadc8, v27
	v_add_u32_e32 v26, -1, v6
	v_sub_u32_e32 v6, v6, v29
	v_mul_f32_e32 v28, 0x37800000, v9
	v_mul_lo_u32 v6, v6, s46
	v_cndmask_b32_e32 v9, v9, v28, vcc
	v_cmp_class_f32_e32 vcc, v7, v4
	v_cndmask_b32_e32 v7, v9, v7, vcc
	v_mul_u32_u24_e32 v27, 0xd47, v27
	v_cmp_nge_f32_e32 vcc, 1.0, v7
	v_xor_b32_e32 v28, 0x7fffffff, v27
	v_sub_u32_e32 v29, 0, v27
	v_cndmask_b32_e32 v5, v8, v5, vcc
	v_cmp_lt_u32_e32 vcc, v6, v27
	v_cndmask_b32_e32 v8, v29, v28, vcc
	v_add_u32_e32 v6, v8, v6
	v_add_u32_e32 v8, -1, v6
	v_cvt_f32_u32_e32 v8, v8
	v_cvt_f32_u32_e32 v26, v26
	v_add_f32_e32 v7, 1.0, v5
	v_fma_f32 v8, v8, s47, 0
	v_fma_f32 v26, v26, s47, 0
	v_mul_f32_e32 v8, v8, v8
	v_fmac_f32_e32 v8, v26, v26
	v_mul_f32_e32 v9, 0x4f800000, v8
	v_cmp_gt_f32_e32 vcc, s56, v8
	v_cndmask_b32_e32 v8, v8, v9, vcc
	v_sqrt_f32_e32 v9, v8
	v_add_u32_e32 v26, -1, v9
	v_add_u32_e32 v27, 1, v9
	v_fma_f32 v28, -v26, v9, v8
	v_fma_f32 v29, -v27, v9, v8
	v_cmp_ge_f32_e64 s[40:41], 0, v28
	v_cndmask_b32_e64 v9, v9, v26, s[40:41]
	v_cmp_lt_f32_e64 s[40:41], 0, v29
	v_cndmask_b32_e64 v9, v9, v27, s[40:41]
	v_mul_f32_e32 v26, 0x37800000, v9
	v_cndmask_b32_e32 v9, v9, v26, vcc
	v_cmp_class_f32_e32 vcc, v8, v4
	v_cndmask_b32_e32 v8, v9, v8, vcc
	v_cmp_nge_f32_e32 vcc, 1.0, v8
	v_cndmask_b32_e32 v5, v7, v5, vcc
	s_cbranch_scc1 .LBB31_999
; %bb.1000:
	v_mul_f32_e32 v4, 4.0, v5
	s_mov_b32 s44, 0x459c4000
	v_div_scale_f32 v5, s[40:41], s44, s44, v4
	v_div_scale_f32 v6, vcc, v4, s44, v4
	v_rcp_f32_e32 v7, v5
	v_fma_f32 v8, -v5, v7, 1.0
	v_fmac_f32_e32 v7, v8, v7
	v_mul_f32_e32 v8, v6, v7
	v_fma_f32 v9, -v5, v8, v6
	v_fmac_f32_e32 v8, v9, v7
	v_fma_f32 v5, -v5, v8, v6
	v_div_fmas_f32 v5, v5, v7, v8
	v_div_fixup_f32 v26, v5, s44, v4
.LBB31_1001:
	s_or_b64 exec, exec, s[42:43]
	v_add_u32_e32 v4, 0xd00, v12
	v_cmp_lt_u32_e64 s[40:41], v4, v10
                                        ; implicit-def: $vgpr27
	s_and_saveexec_b64 s[44:45], s[40:41]
	s_cbranch_execz .LBB31_1021
; %bb.1002:
	v_add_u32_e32 v4, v13, v4
	s_movk_i32 s42, 0x1388
	v_mul_lo_u32 v4, v4, s42
	v_mov_b32_e32 v6, 1
	v_cmp_ne_u32_e32 vcc, 0, v4
	s_and_saveexec_b64 s[42:43], vcc
	s_cbranch_execz .LBB31_1018
; %bb.1003:
	v_mov_b32_e32 v5, 0
	v_mov_b32_e32 v8, 1
	;; [unrolled: 1-line block ×3, first 2 shown]
	s_mov_b64 s[56:57], 0xbc8f
	v_mov_b32_e32 v9, 0
	s_mov_b64 s[46:47], 0
	s_brev_b32 s60, -2
	v_mov_b32_e32 v6, v4
	s_branch .LBB31_1005
.LBB31_1004:                            ;   in Loop: Header=BB31_1005 Depth=1
	s_or_b64 exec, exec, s[58:59]
	s_mul_i32 s57, s56, s57
	s_mul_hi_u32 s58, s56, s56
	s_add_i32 s58, s58, s57
	s_add_i32 s58, s58, s57
	s_mul_i32 s59, s56, s56
	s_mul_i32 s57, s58, 3
	s_mul_hi_u32 s61, s59, 3
	s_mul_hi_u32 s56, s58, 3
	s_add_u32 s57, s57, s61
	s_addc_u32 s56, s56, 0
	s_mul_i32 s62, s59, 0x80000001
	s_mul_hi_u32 s61, s59, 0x80000001
	s_add_u32 s57, s62, s57
	s_addc_u32 s57, s61, 0
	s_add_u32 s56, s56, s57
	s_addc_u32 s57, 0, 0
	s_mul_i32 s62, s58, 0x80000001
	s_mul_hi_u32 s61, s58, 0x80000001
	s_add_u32 s56, s62, s56
	s_addc_u32 s57, s61, s57
	s_lshr_b32 s61, s57, 30
	s_lshr_b64 s[56:57], s[56:57], 30
	s_mul_i32 s61, s61, 0x7fffffff
	s_mul_hi_u32 s57, s56, 0x7fffffff
	v_lshrrev_b64 v[27:28], 1, v[6:7]
	s_add_i32 s57, s57, s61
	s_mul_i32 s56, s56, 0x7fffffff
	s_sub_u32 s56, s59, s56
	v_cmp_gt_u64_e32 vcc, 2, v[6:7]
	s_subb_u32 s57, s58, s57
	v_mov_b32_e32 v6, v27
	s_or_b64 s[46:47], vcc, s[46:47]
	v_mov_b32_e32 v7, v28
	s_andn2_b64 exec, exec, s[46:47]
	s_cbranch_execz .LBB31_1017
.LBB31_1005:                            ; =>This Inner Loop Header: Depth=1
	v_and_b32_e32 v4, 1, v6
	v_cmp_eq_u32_e32 vcc, 1, v4
	s_and_saveexec_b64 s[58:59], vcc
	s_cbranch_execz .LBB31_1004
; %bb.1006:                             ;   in Loop: Header=BB31_1005 Depth=1
	v_mad_u64_u32 v[27:28], s[62:63], s56, v8, 0
	v_mul_lo_u32 v8, s57, v8
	v_mul_lo_u32 v9, s56, v9
	v_mul_hi_u32 v4, v27, 5
	v_add3_u32 v30, v28, v9, v8
	v_mad_u64_u32 v[8:9], s[62:63], v30, 5, v[4:5]
	v_mov_b32_e32 v4, v8
	v_mad_u64_u32 v[28:29], s[62:63], v27, 2, v[4:5]
	v_add_co_u32_e32 v8, vcc, v9, v29
	v_addc_co_u32_e64 v9, s[62:63], 0, 0, vcc
	v_mad_u64_u32 v[8:9], s[62:63], v30, 2, v[8:9]
	v_sub_co_u32_e32 v28, vcc, v27, v8
	v_subb_co_u32_e32 v29, vcc, v30, v9, vcc
	v_lshrrev_b64 v[28:29], 1, v[28:29]
	v_add_co_u32_e32 v4, vcc, v28, v8
	v_addc_co_u32_e32 v28, vcc, v29, v9, vcc
	v_alignbit_b32 v4, v28, v4, 30
	v_mad_u64_u32 v[8:9], s[62:63], v4, s60, 0
	v_lshrrev_b32_e32 v28, 30, v28
	v_mov_b32_e32 v4, v9
	v_mad_u64_u32 v[28:29], s[62:63], v28, s60, v[4:5]
	v_sub_co_u32_e32 v8, vcc, v27, v8
	v_subb_co_u32_e32 v9, vcc, v30, v28, vcc
	s_branch .LBB31_1004
.LBB31_1007:
	s_or_b64 exec, exec, s[46:47]
	v_add_u32_e32 v6, 0x80000001, v10
	v_min_u32_e32 v6, v6, v10
	v_add_u32_e32 v7, 0x80000001, v6
	v_min_u32_e32 v8, v7, v6
.LBB31_1008:
	s_or_b64 exec, exec, s[42:43]
	v_mov_b32_e32 v7, 0
	s_movk_i32 s46, 0x1388
	s_mov_b32 s47, 0xbc8f1391
	s_mov_b32 s60, 0xbc8f
	s_brev_b32 s61, 12
	s_mov_b32 s62, 0xf800000
	v_mov_b32_e32 v6, 0x260
.LBB31_1009:                            ; =>This Inner Loop Header: Depth=1
	v_mul_hi_u32 v9, v8, s47
	v_add_f32_e32 v10, 1.0, v7
	s_add_i32 s46, s46, -2
	s_cmp_lg_u32 s46, 0
	v_lshrrev_b32_e32 v9, 15, v9
	v_mul_u32_u24_e32 v11, 0xadc8, v9
	v_sub_u32_e32 v8, v8, v11
	v_mul_lo_u32 v8, v8, s60
	v_mul_u32_u24_e32 v9, 0xd47, v9
	v_xor_b32_e32 v11, 0x7fffffff, v9
	v_sub_u32_e32 v29, 0, v9
	v_cmp_lt_u32_e32 vcc, v8, v9
	v_cndmask_b32_e32 v9, v29, v11, vcc
	v_add_u32_e32 v8, v9, v8
	v_mul_hi_u32 v11, v8, s47
	v_add_u32_e32 v9, -1, v8
	v_cvt_f32_u32_e32 v9, v9
	v_lshrrev_b32_e32 v11, 15, v11
	v_mul_u32_u24_e32 v29, 0xadc8, v11
	v_sub_u32_e32 v8, v8, v29
	v_mul_lo_u32 v8, v8, s60
	v_mul_u32_u24_e32 v11, 0xd47, v11
	v_xor_b32_e32 v29, 0x7fffffff, v11
	v_sub_u32_e32 v33, 0, v11
	v_cmp_lt_u32_e32 vcc, v8, v11
	v_cndmask_b32_e32 v11, v33, v29, vcc
	v_add_u32_e32 v8, v11, v8
	v_mul_hi_u32 v29, v8, s47
	v_add_u32_e32 v11, -1, v8
	v_cvt_f32_u32_e32 v11, v11
	v_fma_f32 v9, v9, s61, 0
	v_lshrrev_b32_e32 v29, 15, v29
	v_mul_u32_u24_e32 v33, 0xadc8, v29
	v_fma_f32 v11, v11, s61, 0
	v_sub_u32_e32 v8, v8, v33
	v_mul_f32_e32 v11, v11, v11
	v_mul_lo_u32 v8, v8, s60
	v_fmac_f32_e32 v11, v9, v9
	v_mul_f32_e32 v9, 0x4f800000, v11
	v_cmp_gt_f32_e32 vcc, s62, v11
	v_mul_u32_u24_e32 v29, 0xd47, v29
	v_cndmask_b32_e32 v9, v11, v9, vcc
	v_xor_b32_e32 v33, 0x7fffffff, v29
	v_sub_u32_e32 v34, 0, v29
	v_sqrt_f32_e32 v11, v9
	v_cmp_lt_u32_e64 s[42:43], v8, v29
	v_cndmask_b32_e64 v29, v34, v33, s[42:43]
	v_add_u32_e32 v8, v29, v8
	v_mul_hi_u32 v33, v8, s47
	v_add_u32_e32 v34, -1, v11
	v_add_u32_e32 v35, 1, v11
	v_fma_f32 v36, -v34, v11, v9
	v_fma_f32 v37, -v35, v11, v9
	v_cmp_ge_f32_e64 s[42:43], 0, v36
	v_cndmask_b32_e64 v11, v11, v34, s[42:43]
	v_cmp_lt_f32_e64 s[42:43], 0, v37
	v_lshrrev_b32_e32 v33, 15, v33
	v_cndmask_b32_e64 v11, v11, v35, s[42:43]
	v_mul_u32_u24_e32 v35, 0xadc8, v33
	v_add_u32_e32 v29, -1, v8
	v_sub_u32_e32 v8, v8, v35
	v_mul_f32_e32 v34, 0x37800000, v11
	v_mul_lo_u32 v8, v8, s60
	v_cndmask_b32_e32 v11, v11, v34, vcc
	v_cmp_class_f32_e32 vcc, v9, v6
	v_cndmask_b32_e32 v9, v11, v9, vcc
	v_mul_u32_u24_e32 v33, 0xd47, v33
	v_cmp_nge_f32_e32 vcc, 1.0, v9
	v_xor_b32_e32 v34, 0x7fffffff, v33
	v_sub_u32_e32 v35, 0, v33
	v_cndmask_b32_e32 v7, v10, v7, vcc
	v_cmp_lt_u32_e32 vcc, v8, v33
	v_cndmask_b32_e32 v10, v35, v34, vcc
	v_add_u32_e32 v8, v10, v8
	v_add_u32_e32 v10, -1, v8
	v_cvt_f32_u32_e32 v10, v10
	v_cvt_f32_u32_e32 v29, v29
	v_add_f32_e32 v9, 1.0, v7
	v_fma_f32 v10, v10, s61, 0
	v_fma_f32 v29, v29, s61, 0
	v_mul_f32_e32 v10, v10, v10
	v_fmac_f32_e32 v10, v29, v29
	v_mul_f32_e32 v11, 0x4f800000, v10
	v_cmp_gt_f32_e32 vcc, s62, v10
	v_cndmask_b32_e32 v10, v10, v11, vcc
	v_sqrt_f32_e32 v11, v10
	v_add_u32_e32 v29, -1, v11
	v_add_u32_e32 v33, 1, v11
	v_fma_f32 v34, -v29, v11, v10
	v_fma_f32 v35, -v33, v11, v10
	v_cmp_ge_f32_e64 s[42:43], 0, v34
	v_cndmask_b32_e64 v11, v11, v29, s[42:43]
	v_cmp_lt_f32_e64 s[42:43], 0, v35
	v_cndmask_b32_e64 v11, v11, v33, s[42:43]
	v_mul_f32_e32 v29, 0x37800000, v11
	v_cndmask_b32_e32 v11, v11, v29, vcc
	v_cmp_class_f32_e32 vcc, v10, v6
	v_cndmask_b32_e32 v10, v11, v10, vcc
	v_cmp_nge_f32_e32 vcc, 1.0, v10
	v_cndmask_b32_e32 v7, v9, v7, vcc
	s_cbranch_scc1 .LBB31_1009
; %bb.1010:
	v_mul_f32_e32 v6, 4.0, v7
	s_mov_b32 s46, 0x459c4000
	v_div_scale_f32 v7, s[42:43], s46, s46, v6
	v_div_scale_f32 v8, vcc, v6, s46, v6
	v_rcp_f32_e32 v9, v7
	v_fma_f32 v10, -v7, v9, 1.0
	v_fmac_f32_e32 v9, v10, v9
	v_mul_f32_e32 v10, v8, v9
	v_fma_f32 v11, -v7, v10, v8
	v_fmac_f32_e32 v10, v11, v9
	v_fma_f32 v7, -v7, v10, v8
	v_div_fmas_f32 v7, v7, v9, v10
	v_div_fixup_f32 v29, v7, s46, v6
.LBB31_1011:
	s_or_b64 exec, exec, s[44:45]
	v_add_u32_e32 v6, 0xe00, v14
	v_cmp_lt_u32_e64 s[42:43], v6, v12
	s_and_saveexec_b64 s[46:47], s[42:43]
	s_cbranch_execz .LBB31_1031
; %bb.1012:
	v_add_u32_e32 v6, v15, v6
	s_movk_i32 s44, 0x1388
	v_mul_lo_u32 v6, v6, s44
	v_mov_b32_e32 v8, 1
	v_cmp_ne_u32_e32 vcc, 0, v6
	s_and_saveexec_b64 s[44:45], vcc
	s_cbranch_execz .LBB31_1028
; %bb.1013:
	v_mov_b32_e32 v7, 0
	v_mov_b32_e32 v10, 1
	;; [unrolled: 1-line block ×3, first 2 shown]
	s_mov_b64 s[62:63], 0xbc8f
	v_mov_b32_e32 v11, 0
	s_mov_b64 s[60:61], 0
	s_brev_b32 s74, -2
	v_mov_b32_e32 v8, v6
	s_branch .LBB31_1015
.LBB31_1014:                            ;   in Loop: Header=BB31_1015 Depth=1
	s_or_b64 exec, exec, s[72:73]
	s_mul_i32 s63, s62, s63
	s_mul_hi_u32 s72, s62, s62
	s_add_i32 s72, s72, s63
	s_add_i32 s72, s72, s63
	s_mul_i32 s73, s62, s62
	s_mul_i32 s63, s72, 3
	s_mul_hi_u32 s75, s73, 3
	s_mul_hi_u32 s62, s72, 3
	s_add_u32 s63, s63, s75
	s_addc_u32 s62, s62, 0
	s_mul_i32 s76, s73, 0x80000001
	s_mul_hi_u32 s75, s73, 0x80000001
	s_add_u32 s63, s76, s63
	s_addc_u32 s63, s75, 0
	s_add_u32 s62, s62, s63
	s_addc_u32 s63, 0, 0
	s_mul_i32 s76, s72, 0x80000001
	s_mul_hi_u32 s75, s72, 0x80000001
	s_add_u32 s62, s76, s62
	s_addc_u32 s63, s75, s63
	s_lshr_b32 s75, s63, 30
	s_lshr_b64 s[62:63], s[62:63], 30
	s_mul_i32 s75, s75, 0x7fffffff
	s_mul_hi_u32 s63, s62, 0x7fffffff
	v_lshrrev_b64 v[33:34], 1, v[8:9]
	s_add_i32 s63, s63, s75
	s_mul_i32 s62, s62, 0x7fffffff
	s_sub_u32 s62, s73, s62
	v_cmp_gt_u64_e32 vcc, 2, v[8:9]
	s_subb_u32 s63, s72, s63
	v_mov_b32_e32 v8, v33
	s_or_b64 s[60:61], vcc, s[60:61]
	v_mov_b32_e32 v9, v34
	s_andn2_b64 exec, exec, s[60:61]
	s_cbranch_execz .LBB31_1027
.LBB31_1015:                            ; =>This Inner Loop Header: Depth=1
	v_and_b32_e32 v6, 1, v8
	v_cmp_eq_u32_e32 vcc, 1, v6
	s_and_saveexec_b64 s[72:73], vcc
	s_cbranch_execz .LBB31_1014
; %bb.1016:                             ;   in Loop: Header=BB31_1015 Depth=1
	v_mad_u64_u32 v[33:34], s[76:77], s62, v10, 0
	v_mul_lo_u32 v10, s63, v10
	v_mul_lo_u32 v11, s62, v11
	v_mul_hi_u32 v6, v33, 5
	v_add3_u32 v30, v34, v11, v10
	v_mad_u64_u32 v[10:11], s[76:77], v30, 5, v[6:7]
	v_mov_b32_e32 v6, v10
	v_mad_u64_u32 v[34:35], s[76:77], v33, 2, v[6:7]
	v_add_co_u32_e32 v10, vcc, v11, v35
	v_addc_co_u32_e64 v11, s[76:77], 0, 0, vcc
	v_mad_u64_u32 v[10:11], s[76:77], v30, 2, v[10:11]
	v_sub_co_u32_e32 v34, vcc, v33, v10
	v_subb_co_u32_e32 v35, vcc, v30, v11, vcc
	v_lshrrev_b64 v[34:35], 1, v[34:35]
	v_add_co_u32_e32 v6, vcc, v34, v10
	v_addc_co_u32_e32 v34, vcc, v35, v11, vcc
	v_alignbit_b32 v6, v34, v6, 30
	v_mad_u64_u32 v[10:11], s[76:77], v6, s74, 0
	v_lshrrev_b32_e32 v34, 30, v34
	v_mov_b32_e32 v6, v11
	v_mad_u64_u32 v[34:35], s[76:77], v34, s74, v[6:7]
	v_sub_co_u32_e32 v10, vcc, v33, v10
	v_subb_co_u32_e32 v11, vcc, v30, v34, vcc
	s_branch .LBB31_1014
.LBB31_1017:
	s_or_b64 exec, exec, s[46:47]
	v_add_u32_e32 v4, 0x80000001, v8
	v_min_u32_e32 v4, v4, v8
	v_add_u32_e32 v5, 0x80000001, v4
	v_min_u32_e32 v6, v5, v4
.LBB31_1018:
	s_or_b64 exec, exec, s[42:43]
	v_mov_b32_e32 v5, 0
	s_movk_i32 s46, 0x1388
	s_mov_b32 s47, 0xbc8f1391
	s_mov_b32 s56, 0xbc8f
	s_brev_b32 s57, 12
	s_mov_b32 s58, 0xf800000
	v_mov_b32_e32 v4, 0x260
.LBB31_1019:                            ; =>This Inner Loop Header: Depth=1
	v_mul_hi_u32 v7, v6, s47
	v_add_f32_e32 v8, 1.0, v5
	s_add_i32 s46, s46, -2
	s_cmp_lg_u32 s46, 0
	v_lshrrev_b32_e32 v7, 15, v7
	v_mul_u32_u24_e32 v9, 0xadc8, v7
	v_sub_u32_e32 v6, v6, v9
	v_mul_lo_u32 v6, v6, s56
	v_mul_u32_u24_e32 v7, 0xd47, v7
	v_xor_b32_e32 v9, 0x7fffffff, v7
	v_sub_u32_e32 v27, 0, v7
	v_cmp_lt_u32_e32 vcc, v6, v7
	v_cndmask_b32_e32 v7, v27, v9, vcc
	v_add_u32_e32 v6, v7, v6
	v_mul_hi_u32 v9, v6, s47
	v_add_u32_e32 v7, -1, v6
	v_cvt_f32_u32_e32 v7, v7
	v_lshrrev_b32_e32 v9, 15, v9
	v_mul_u32_u24_e32 v27, 0xadc8, v9
	v_sub_u32_e32 v6, v6, v27
	v_mul_lo_u32 v6, v6, s56
	v_mul_u32_u24_e32 v9, 0xd47, v9
	v_xor_b32_e32 v27, 0x7fffffff, v9
	v_sub_u32_e32 v28, 0, v9
	v_cmp_lt_u32_e32 vcc, v6, v9
	v_cndmask_b32_e32 v9, v28, v27, vcc
	v_add_u32_e32 v6, v9, v6
	v_mul_hi_u32 v27, v6, s47
	v_add_u32_e32 v9, -1, v6
	v_cvt_f32_u32_e32 v9, v9
	v_fma_f32 v7, v7, s57, 0
	v_lshrrev_b32_e32 v27, 15, v27
	v_mul_u32_u24_e32 v28, 0xadc8, v27
	v_fma_f32 v9, v9, s57, 0
	v_sub_u32_e32 v6, v6, v28
	v_mul_f32_e32 v9, v9, v9
	v_mul_lo_u32 v6, v6, s56
	v_fmac_f32_e32 v9, v7, v7
	v_mul_f32_e32 v7, 0x4f800000, v9
	v_cmp_gt_f32_e32 vcc, s58, v9
	v_mul_u32_u24_e32 v27, 0xd47, v27
	v_cndmask_b32_e32 v7, v9, v7, vcc
	v_xor_b32_e32 v28, 0x7fffffff, v27
	v_sub_u32_e32 v29, 0, v27
	v_sqrt_f32_e32 v9, v7
	v_cmp_lt_u32_e64 s[42:43], v6, v27
	v_cndmask_b32_e64 v27, v29, v28, s[42:43]
	v_add_u32_e32 v6, v27, v6
	v_mul_hi_u32 v28, v6, s47
	v_add_u32_e32 v29, -1, v9
	v_add_u32_e32 v30, 1, v9
	v_fma_f32 v31, -v29, v9, v7
	v_fma_f32 v32, -v30, v9, v7
	v_cmp_ge_f32_e64 s[42:43], 0, v31
	v_cndmask_b32_e64 v9, v9, v29, s[42:43]
	v_cmp_lt_f32_e64 s[42:43], 0, v32
	v_lshrrev_b32_e32 v28, 15, v28
	v_cndmask_b32_e64 v9, v9, v30, s[42:43]
	v_mul_u32_u24_e32 v30, 0xadc8, v28
	v_add_u32_e32 v27, -1, v6
	v_sub_u32_e32 v6, v6, v30
	v_mul_f32_e32 v29, 0x37800000, v9
	v_mul_lo_u32 v6, v6, s56
	v_cndmask_b32_e32 v9, v9, v29, vcc
	v_cmp_class_f32_e32 vcc, v7, v4
	v_cndmask_b32_e32 v7, v9, v7, vcc
	v_mul_u32_u24_e32 v28, 0xd47, v28
	v_cmp_nge_f32_e32 vcc, 1.0, v7
	v_xor_b32_e32 v29, 0x7fffffff, v28
	v_sub_u32_e32 v30, 0, v28
	v_cndmask_b32_e32 v5, v8, v5, vcc
	v_cmp_lt_u32_e32 vcc, v6, v28
	v_cndmask_b32_e32 v8, v30, v29, vcc
	v_add_u32_e32 v6, v8, v6
	v_add_u32_e32 v8, -1, v6
	v_cvt_f32_u32_e32 v8, v8
	v_cvt_f32_u32_e32 v27, v27
	v_add_f32_e32 v7, 1.0, v5
	v_fma_f32 v8, v8, s57, 0
	v_fma_f32 v27, v27, s57, 0
	v_mul_f32_e32 v8, v8, v8
	v_fmac_f32_e32 v8, v27, v27
	v_mul_f32_e32 v9, 0x4f800000, v8
	v_cmp_gt_f32_e32 vcc, s58, v8
	v_cndmask_b32_e32 v8, v8, v9, vcc
	v_sqrt_f32_e32 v9, v8
	v_add_u32_e32 v27, -1, v9
	v_add_u32_e32 v28, 1, v9
	v_fma_f32 v29, -v27, v9, v8
	v_fma_f32 v30, -v28, v9, v8
	v_cmp_ge_f32_e64 s[42:43], 0, v29
	v_cndmask_b32_e64 v9, v9, v27, s[42:43]
	v_cmp_lt_f32_e64 s[42:43], 0, v30
	v_cndmask_b32_e64 v9, v9, v28, s[42:43]
	v_mul_f32_e32 v27, 0x37800000, v9
	v_cndmask_b32_e32 v9, v9, v27, vcc
	v_cmp_class_f32_e32 vcc, v8, v4
	v_cndmask_b32_e32 v8, v9, v8, vcc
	v_cmp_nge_f32_e32 vcc, 1.0, v8
	v_cndmask_b32_e32 v5, v7, v5, vcc
	s_cbranch_scc1 .LBB31_1019
; %bb.1020:
	v_mul_f32_e32 v4, 4.0, v5
	s_mov_b32 s46, 0x459c4000
	v_div_scale_f32 v5, s[42:43], s46, s46, v4
	v_div_scale_f32 v6, vcc, v4, s46, v4
	v_rcp_f32_e32 v7, v5
	v_fma_f32 v8, -v5, v7, 1.0
	v_fmac_f32_e32 v7, v8, v7
	v_mul_f32_e32 v8, v6, v7
	v_fma_f32 v9, -v5, v8, v6
	v_fmac_f32_e32 v8, v9, v7
	v_fma_f32 v5, -v5, v8, v6
	v_div_fmas_f32 v5, v5, v7, v8
	v_div_fixup_f32 v27, v5, s46, v4
.LBB31_1021:
	s_or_b64 exec, exec, s[44:45]
	v_add_u32_e32 v4, 0xe00, v12
	v_cmp_lt_u32_e64 s[42:43], v4, v10
                                        ; implicit-def: $vgpr28
	s_and_saveexec_b64 s[46:47], s[42:43]
	s_cbranch_execz .LBB31_1041
; %bb.1022:
	v_add_u32_e32 v4, v13, v4
	s_movk_i32 s44, 0x1388
	v_mul_lo_u32 v4, v4, s44
	v_mov_b32_e32 v6, 1
	v_cmp_ne_u32_e32 vcc, 0, v4
	s_and_saveexec_b64 s[44:45], vcc
	s_cbranch_execz .LBB31_1038
; %bb.1023:
	v_mov_b32_e32 v5, 0
	v_mov_b32_e32 v8, 1
	;; [unrolled: 1-line block ×3, first 2 shown]
	s_mov_b64 s[58:59], 0xbc8f
	v_mov_b32_e32 v9, 0
	s_mov_b64 s[56:57], 0
	s_brev_b32 s62, -2
	v_mov_b32_e32 v6, v4
	s_branch .LBB31_1025
.LBB31_1024:                            ;   in Loop: Header=BB31_1025 Depth=1
	s_or_b64 exec, exec, s[60:61]
	s_mul_i32 s59, s58, s59
	s_mul_hi_u32 s60, s58, s58
	s_add_i32 s60, s60, s59
	s_add_i32 s60, s60, s59
	s_mul_i32 s61, s58, s58
	s_mul_i32 s59, s60, 3
	s_mul_hi_u32 s63, s61, 3
	s_mul_hi_u32 s58, s60, 3
	s_add_u32 s59, s59, s63
	s_addc_u32 s58, s58, 0
	s_mul_i32 s72, s61, 0x80000001
	s_mul_hi_u32 s63, s61, 0x80000001
	s_add_u32 s59, s72, s59
	s_addc_u32 s59, s63, 0
	s_add_u32 s58, s58, s59
	s_addc_u32 s59, 0, 0
	s_mul_i32 s72, s60, 0x80000001
	s_mul_hi_u32 s63, s60, 0x80000001
	s_add_u32 s58, s72, s58
	s_addc_u32 s59, s63, s59
	s_lshr_b32 s63, s59, 30
	s_lshr_b64 s[58:59], s[58:59], 30
	s_mul_i32 s63, s63, 0x7fffffff
	s_mul_hi_u32 s59, s58, 0x7fffffff
	v_lshrrev_b64 v[28:29], 1, v[6:7]
	s_add_i32 s59, s59, s63
	s_mul_i32 s58, s58, 0x7fffffff
	s_sub_u32 s58, s61, s58
	v_cmp_gt_u64_e32 vcc, 2, v[6:7]
	s_subb_u32 s59, s60, s59
	v_mov_b32_e32 v6, v28
	s_or_b64 s[56:57], vcc, s[56:57]
	v_mov_b32_e32 v7, v29
	s_andn2_b64 exec, exec, s[56:57]
	s_cbranch_execz .LBB31_1037
.LBB31_1025:                            ; =>This Inner Loop Header: Depth=1
	v_and_b32_e32 v4, 1, v6
	v_cmp_eq_u32_e32 vcc, 1, v4
	s_and_saveexec_b64 s[60:61], vcc
	s_cbranch_execz .LBB31_1024
; %bb.1026:                             ;   in Loop: Header=BB31_1025 Depth=1
	v_mad_u64_u32 v[28:29], s[72:73], s58, v8, 0
	v_mul_lo_u32 v8, s59, v8
	v_mul_lo_u32 v9, s58, v9
	v_mul_hi_u32 v4, v28, 5
	v_add3_u32 v31, v29, v9, v8
	v_mad_u64_u32 v[8:9], s[72:73], v31, 5, v[4:5]
	v_mov_b32_e32 v4, v8
	v_mad_u64_u32 v[29:30], s[72:73], v28, 2, v[4:5]
	v_add_co_u32_e32 v8, vcc, v9, v30
	v_addc_co_u32_e64 v9, s[72:73], 0, 0, vcc
	v_mad_u64_u32 v[8:9], s[72:73], v31, 2, v[8:9]
	v_sub_co_u32_e32 v29, vcc, v28, v8
	v_subb_co_u32_e32 v30, vcc, v31, v9, vcc
	v_lshrrev_b64 v[29:30], 1, v[29:30]
	v_add_co_u32_e32 v4, vcc, v29, v8
	v_addc_co_u32_e32 v29, vcc, v30, v9, vcc
	v_alignbit_b32 v4, v29, v4, 30
	v_mad_u64_u32 v[8:9], s[72:73], v4, s62, 0
	v_lshrrev_b32_e32 v29, 30, v29
	v_mov_b32_e32 v4, v9
	v_mad_u64_u32 v[29:30], s[72:73], v29, s62, v[4:5]
	v_sub_co_u32_e32 v8, vcc, v28, v8
	v_subb_co_u32_e32 v9, vcc, v31, v29, vcc
	s_branch .LBB31_1024
.LBB31_1027:
	s_or_b64 exec, exec, s[60:61]
	v_add_u32_e32 v6, 0x80000001, v10
	v_min_u32_e32 v6, v6, v10
	v_add_u32_e32 v7, 0x80000001, v6
	v_min_u32_e32 v8, v7, v6
.LBB31_1028:
	s_or_b64 exec, exec, s[44:45]
	v_mov_b32_e32 v7, 0
	s_movk_i32 s60, 0x1388
	s_mov_b32 s61, 0xbc8f1391
	s_mov_b32 s62, 0xbc8f
	s_brev_b32 s63, 12
	s_mov_b32 s72, 0xf800000
	v_mov_b32_e32 v6, 0x260
.LBB31_1029:                            ; =>This Inner Loop Header: Depth=1
	v_mul_hi_u32 v9, v8, s61
	v_add_f32_e32 v10, 1.0, v7
	s_add_i32 s60, s60, -2
	s_cmp_lg_u32 s60, 0
	v_lshrrev_b32_e32 v9, 15, v9
	v_mul_u32_u24_e32 v11, 0xadc8, v9
	v_sub_u32_e32 v8, v8, v11
	v_mul_lo_u32 v8, v8, s62
	v_mul_u32_u24_e32 v9, 0xd47, v9
	v_xor_b32_e32 v11, 0x7fffffff, v9
	v_sub_u32_e32 v30, 0, v9
	v_cmp_lt_u32_e32 vcc, v8, v9
	v_cndmask_b32_e32 v9, v30, v11, vcc
	v_add_u32_e32 v8, v9, v8
	v_mul_hi_u32 v11, v8, s61
	v_add_u32_e32 v9, -1, v8
	v_cvt_f32_u32_e32 v9, v9
	v_lshrrev_b32_e32 v11, 15, v11
	v_mul_u32_u24_e32 v30, 0xadc8, v11
	v_sub_u32_e32 v8, v8, v30
	v_mul_lo_u32 v8, v8, s62
	v_mul_u32_u24_e32 v11, 0xd47, v11
	v_xor_b32_e32 v30, 0x7fffffff, v11
	v_sub_u32_e32 v33, 0, v11
	v_cmp_lt_u32_e32 vcc, v8, v11
	v_cndmask_b32_e32 v11, v33, v30, vcc
	v_add_u32_e32 v8, v11, v8
	v_mul_hi_u32 v30, v8, s61
	v_add_u32_e32 v11, -1, v8
	v_cvt_f32_u32_e32 v11, v11
	v_fma_f32 v9, v9, s63, 0
	v_lshrrev_b32_e32 v30, 15, v30
	v_mul_u32_u24_e32 v33, 0xadc8, v30
	v_fma_f32 v11, v11, s63, 0
	v_sub_u32_e32 v8, v8, v33
	v_mul_f32_e32 v11, v11, v11
	v_mul_lo_u32 v8, v8, s62
	v_fmac_f32_e32 v11, v9, v9
	v_mul_f32_e32 v9, 0x4f800000, v11
	v_cmp_gt_f32_e32 vcc, s72, v11
	v_mul_u32_u24_e32 v30, 0xd47, v30
	v_cndmask_b32_e32 v9, v11, v9, vcc
	v_xor_b32_e32 v33, 0x7fffffff, v30
	v_sub_u32_e32 v34, 0, v30
	v_sqrt_f32_e32 v11, v9
	v_cmp_lt_u32_e64 s[44:45], v8, v30
	v_cndmask_b32_e64 v30, v34, v33, s[44:45]
	v_add_u32_e32 v8, v30, v8
	v_mul_hi_u32 v33, v8, s61
	v_add_u32_e32 v34, -1, v11
	v_add_u32_e32 v35, 1, v11
	v_fma_f32 v36, -v34, v11, v9
	v_fma_f32 v37, -v35, v11, v9
	v_cmp_ge_f32_e64 s[44:45], 0, v36
	v_cndmask_b32_e64 v11, v11, v34, s[44:45]
	v_cmp_lt_f32_e64 s[44:45], 0, v37
	v_lshrrev_b32_e32 v33, 15, v33
	v_cndmask_b32_e64 v11, v11, v35, s[44:45]
	v_mul_u32_u24_e32 v35, 0xadc8, v33
	v_add_u32_e32 v30, -1, v8
	v_sub_u32_e32 v8, v8, v35
	v_mul_f32_e32 v34, 0x37800000, v11
	v_mul_lo_u32 v8, v8, s62
	v_cndmask_b32_e32 v11, v11, v34, vcc
	v_cmp_class_f32_e32 vcc, v9, v6
	v_cndmask_b32_e32 v9, v11, v9, vcc
	v_mul_u32_u24_e32 v33, 0xd47, v33
	v_cmp_nge_f32_e32 vcc, 1.0, v9
	v_xor_b32_e32 v34, 0x7fffffff, v33
	v_sub_u32_e32 v35, 0, v33
	v_cndmask_b32_e32 v7, v10, v7, vcc
	v_cmp_lt_u32_e32 vcc, v8, v33
	v_cndmask_b32_e32 v10, v35, v34, vcc
	v_add_u32_e32 v8, v10, v8
	v_add_u32_e32 v10, -1, v8
	v_cvt_f32_u32_e32 v10, v10
	v_cvt_f32_u32_e32 v30, v30
	v_add_f32_e32 v9, 1.0, v7
	v_fma_f32 v10, v10, s63, 0
	v_fma_f32 v30, v30, s63, 0
	v_mul_f32_e32 v10, v10, v10
	v_fmac_f32_e32 v10, v30, v30
	v_mul_f32_e32 v11, 0x4f800000, v10
	v_cmp_gt_f32_e32 vcc, s72, v10
	v_cndmask_b32_e32 v10, v10, v11, vcc
	v_sqrt_f32_e32 v11, v10
	v_add_u32_e32 v30, -1, v11
	v_add_u32_e32 v33, 1, v11
	v_fma_f32 v34, -v30, v11, v10
	v_fma_f32 v35, -v33, v11, v10
	v_cmp_ge_f32_e64 s[44:45], 0, v34
	v_cndmask_b32_e64 v11, v11, v30, s[44:45]
	v_cmp_lt_f32_e64 s[44:45], 0, v35
	v_cndmask_b32_e64 v11, v11, v33, s[44:45]
	v_mul_f32_e32 v30, 0x37800000, v11
	v_cndmask_b32_e32 v11, v11, v30, vcc
	v_cmp_class_f32_e32 vcc, v10, v6
	v_cndmask_b32_e32 v10, v11, v10, vcc
	v_cmp_nge_f32_e32 vcc, 1.0, v10
	v_cndmask_b32_e32 v7, v9, v7, vcc
	s_cbranch_scc1 .LBB31_1029
; %bb.1030:
	v_mul_f32_e32 v6, 4.0, v7
	s_mov_b32 s60, 0x459c4000
	v_div_scale_f32 v7, s[44:45], s60, s60, v6
	v_div_scale_f32 v8, vcc, v6, s60, v6
	v_rcp_f32_e32 v9, v7
	v_fma_f32 v10, -v7, v9, 1.0
	v_fmac_f32_e32 v9, v10, v9
	v_mul_f32_e32 v10, v8, v9
	v_fma_f32 v11, -v7, v10, v8
	v_fmac_f32_e32 v10, v11, v9
	v_fma_f32 v7, -v7, v10, v8
	v_div_fmas_f32 v7, v7, v9, v10
	v_div_fixup_f32 v30, v7, s60, v6
.LBB31_1031:
	s_or_b64 exec, exec, s[46:47]
	v_add_u32_e32 v6, 0xf00, v14
	v_cmp_lt_u32_e64 s[44:45], v6, v12
	s_and_saveexec_b64 s[60:61], s[44:45]
	s_cbranch_execz .LBB31_1051
; %bb.1032:
	v_add_u32_e32 v6, v15, v6
	s_movk_i32 s46, 0x1388
	v_mul_lo_u32 v6, v6, s46
	v_mov_b32_e32 v8, 1
	v_cmp_ne_u32_e32 vcc, 0, v6
	s_and_saveexec_b64 s[46:47], vcc
	s_cbranch_execz .LBB31_1048
; %bb.1033:
	v_mov_b32_e32 v7, 0
	v_mov_b32_e32 v10, 1
	;; [unrolled: 1-line block ×3, first 2 shown]
	s_mov_b64 s[72:73], 0xbc8f
	v_mov_b32_e32 v11, 0
	s_mov_b64 s[62:63], 0
	s_brev_b32 s76, -2
	v_mov_b32_e32 v8, v6
	s_branch .LBB31_1035
.LBB31_1034:                            ;   in Loop: Header=BB31_1035 Depth=1
	s_or_b64 exec, exec, s[74:75]
	s_mul_i32 s73, s72, s73
	s_mul_hi_u32 s74, s72, s72
	s_add_i32 s74, s74, s73
	s_add_i32 s74, s74, s73
	s_mul_i32 s75, s72, s72
	s_mul_i32 s73, s74, 3
	s_mul_hi_u32 s77, s75, 3
	s_mul_hi_u32 s72, s74, 3
	s_add_u32 s73, s73, s77
	s_addc_u32 s72, s72, 0
	s_mul_i32 s78, s75, 0x80000001
	s_mul_hi_u32 s77, s75, 0x80000001
	s_add_u32 s73, s78, s73
	s_addc_u32 s73, s77, 0
	s_add_u32 s72, s72, s73
	s_addc_u32 s73, 0, 0
	s_mul_i32 s78, s74, 0x80000001
	s_mul_hi_u32 s77, s74, 0x80000001
	s_add_u32 s72, s78, s72
	s_addc_u32 s73, s77, s73
	s_lshr_b32 s77, s73, 30
	s_lshr_b64 s[72:73], s[72:73], 30
	s_mul_i32 s77, s77, 0x7fffffff
	s_mul_hi_u32 s73, s72, 0x7fffffff
	v_lshrrev_b64 v[32:33], 1, v[8:9]
	s_add_i32 s73, s73, s77
	s_mul_i32 s72, s72, 0x7fffffff
	s_sub_u32 s72, s75, s72
	v_cmp_gt_u64_e32 vcc, 2, v[8:9]
	s_subb_u32 s73, s74, s73
	v_mov_b32_e32 v8, v32
	s_or_b64 s[62:63], vcc, s[62:63]
	v_mov_b32_e32 v9, v33
	s_andn2_b64 exec, exec, s[62:63]
	s_cbranch_execz .LBB31_1047
.LBB31_1035:                            ; =>This Inner Loop Header: Depth=1
	v_and_b32_e32 v6, 1, v8
	v_cmp_eq_u32_e32 vcc, 1, v6
	s_and_saveexec_b64 s[74:75], vcc
	s_cbranch_execz .LBB31_1034
; %bb.1036:                             ;   in Loop: Header=BB31_1035 Depth=1
	v_mad_u64_u32 v[32:33], s[78:79], s72, v10, 0
	v_mul_lo_u32 v10, s73, v10
	v_mul_lo_u32 v11, s72, v11
	v_mul_hi_u32 v6, v32, 5
	v_add3_u32 v15, v33, v11, v10
	v_mad_u64_u32 v[10:11], s[78:79], v15, 5, v[6:7]
	v_mov_b32_e32 v6, v10
	v_mad_u64_u32 v[33:34], s[78:79], v32, 2, v[6:7]
	v_add_co_u32_e32 v10, vcc, v11, v34
	v_addc_co_u32_e64 v11, s[78:79], 0, 0, vcc
	v_mad_u64_u32 v[10:11], s[78:79], v15, 2, v[10:11]
	v_sub_co_u32_e32 v33, vcc, v32, v10
	v_subb_co_u32_e32 v34, vcc, v15, v11, vcc
	v_lshrrev_b64 v[33:34], 1, v[33:34]
	v_add_co_u32_e32 v6, vcc, v33, v10
	v_addc_co_u32_e32 v33, vcc, v34, v11, vcc
	v_alignbit_b32 v6, v33, v6, 30
	v_mad_u64_u32 v[10:11], s[78:79], v6, s76, 0
	v_lshrrev_b32_e32 v33, 30, v33
	v_mov_b32_e32 v6, v11
	v_mad_u64_u32 v[33:34], s[78:79], v33, s76, v[6:7]
	v_sub_co_u32_e32 v10, vcc, v32, v10
	v_subb_co_u32_e32 v11, vcc, v15, v33, vcc
	s_branch .LBB31_1034
.LBB31_1037:
	s_or_b64 exec, exec, s[56:57]
	v_add_u32_e32 v4, 0x80000001, v8
	v_min_u32_e32 v4, v4, v8
	v_add_u32_e32 v5, 0x80000001, v4
	v_min_u32_e32 v6, v5, v4
.LBB31_1038:
	s_or_b64 exec, exec, s[44:45]
	v_mov_b32_e32 v5, 0
	s_movk_i32 s56, 0x1388
	s_mov_b32 s57, 0xbc8f1391
	s_mov_b32 s58, 0xbc8f
	s_brev_b32 s59, 12
	s_mov_b32 s60, 0xf800000
	v_mov_b32_e32 v4, 0x260
.LBB31_1039:                            ; =>This Inner Loop Header: Depth=1
	v_mul_hi_u32 v7, v6, s57
	v_add_f32_e32 v8, 1.0, v5
	s_add_i32 s56, s56, -2
	s_cmp_lg_u32 s56, 0
	v_lshrrev_b32_e32 v7, 15, v7
	v_mul_u32_u24_e32 v9, 0xadc8, v7
	v_sub_u32_e32 v6, v6, v9
	v_mul_lo_u32 v6, v6, s58
	v_mul_u32_u24_e32 v7, 0xd47, v7
	v_xor_b32_e32 v9, 0x7fffffff, v7
	v_sub_u32_e32 v28, 0, v7
	v_cmp_lt_u32_e32 vcc, v6, v7
	v_cndmask_b32_e32 v7, v28, v9, vcc
	v_add_u32_e32 v6, v7, v6
	v_mul_hi_u32 v9, v6, s57
	v_add_u32_e32 v7, -1, v6
	v_cvt_f32_u32_e32 v7, v7
	v_lshrrev_b32_e32 v9, 15, v9
	v_mul_u32_u24_e32 v28, 0xadc8, v9
	v_sub_u32_e32 v6, v6, v28
	v_mul_lo_u32 v6, v6, s58
	v_mul_u32_u24_e32 v9, 0xd47, v9
	v_xor_b32_e32 v28, 0x7fffffff, v9
	v_sub_u32_e32 v29, 0, v9
	v_cmp_lt_u32_e32 vcc, v6, v9
	v_cndmask_b32_e32 v9, v29, v28, vcc
	v_add_u32_e32 v6, v9, v6
	v_mul_hi_u32 v28, v6, s57
	v_add_u32_e32 v9, -1, v6
	v_cvt_f32_u32_e32 v9, v9
	v_fma_f32 v7, v7, s59, 0
	v_lshrrev_b32_e32 v28, 15, v28
	v_mul_u32_u24_e32 v29, 0xadc8, v28
	v_fma_f32 v9, v9, s59, 0
	v_sub_u32_e32 v6, v6, v29
	v_mul_f32_e32 v9, v9, v9
	v_mul_lo_u32 v6, v6, s58
	v_fmac_f32_e32 v9, v7, v7
	v_mul_f32_e32 v7, 0x4f800000, v9
	v_cmp_gt_f32_e32 vcc, s60, v9
	v_mul_u32_u24_e32 v28, 0xd47, v28
	v_cndmask_b32_e32 v7, v9, v7, vcc
	v_xor_b32_e32 v29, 0x7fffffff, v28
	v_sub_u32_e32 v30, 0, v28
	v_sqrt_f32_e32 v9, v7
	v_cmp_lt_u32_e64 s[44:45], v6, v28
	v_cndmask_b32_e64 v28, v30, v29, s[44:45]
	v_add_u32_e32 v6, v28, v6
	v_mul_hi_u32 v29, v6, s57
	v_add_u32_e32 v30, -1, v9
	v_add_u32_e32 v31, 1, v9
	v_fma_f32 v32, -v30, v9, v7
	v_fma_f32 v33, -v31, v9, v7
	v_cmp_ge_f32_e64 s[44:45], 0, v32
	v_cndmask_b32_e64 v9, v9, v30, s[44:45]
	v_cmp_lt_f32_e64 s[44:45], 0, v33
	v_lshrrev_b32_e32 v29, 15, v29
	v_cndmask_b32_e64 v9, v9, v31, s[44:45]
	v_mul_u32_u24_e32 v31, 0xadc8, v29
	v_add_u32_e32 v28, -1, v6
	v_sub_u32_e32 v6, v6, v31
	v_mul_f32_e32 v30, 0x37800000, v9
	v_mul_lo_u32 v6, v6, s58
	v_cndmask_b32_e32 v9, v9, v30, vcc
	v_cmp_class_f32_e32 vcc, v7, v4
	v_cndmask_b32_e32 v7, v9, v7, vcc
	v_mul_u32_u24_e32 v29, 0xd47, v29
	v_cmp_nge_f32_e32 vcc, 1.0, v7
	v_xor_b32_e32 v30, 0x7fffffff, v29
	v_sub_u32_e32 v31, 0, v29
	v_cndmask_b32_e32 v5, v8, v5, vcc
	v_cmp_lt_u32_e32 vcc, v6, v29
	v_cndmask_b32_e32 v8, v31, v30, vcc
	v_add_u32_e32 v6, v8, v6
	v_add_u32_e32 v8, -1, v6
	v_cvt_f32_u32_e32 v8, v8
	v_cvt_f32_u32_e32 v28, v28
	v_add_f32_e32 v7, 1.0, v5
	v_fma_f32 v8, v8, s59, 0
	v_fma_f32 v28, v28, s59, 0
	v_mul_f32_e32 v8, v8, v8
	v_fmac_f32_e32 v8, v28, v28
	v_mul_f32_e32 v9, 0x4f800000, v8
	v_cmp_gt_f32_e32 vcc, s60, v8
	v_cndmask_b32_e32 v8, v8, v9, vcc
	v_sqrt_f32_e32 v9, v8
	v_add_u32_e32 v28, -1, v9
	v_add_u32_e32 v29, 1, v9
	v_fma_f32 v30, -v28, v9, v8
	v_fma_f32 v31, -v29, v9, v8
	v_cmp_ge_f32_e64 s[44:45], 0, v30
	v_cndmask_b32_e64 v9, v9, v28, s[44:45]
	v_cmp_lt_f32_e64 s[44:45], 0, v31
	v_cndmask_b32_e64 v9, v9, v29, s[44:45]
	v_mul_f32_e32 v28, 0x37800000, v9
	v_cndmask_b32_e32 v9, v9, v28, vcc
	v_cmp_class_f32_e32 vcc, v8, v4
	v_cndmask_b32_e32 v8, v9, v8, vcc
	v_cmp_nge_f32_e32 vcc, 1.0, v8
	v_cndmask_b32_e32 v5, v7, v5, vcc
	s_cbranch_scc1 .LBB31_1039
; %bb.1040:
	v_mul_f32_e32 v4, 4.0, v5
	s_mov_b32 s56, 0x459c4000
	v_div_scale_f32 v5, s[44:45], s56, s56, v4
	v_div_scale_f32 v6, vcc, v4, s56, v4
	v_rcp_f32_e32 v7, v5
	v_fma_f32 v8, -v5, v7, 1.0
	v_fmac_f32_e32 v7, v8, v7
	v_mul_f32_e32 v8, v6, v7
	v_fma_f32 v9, -v5, v8, v6
	v_fmac_f32_e32 v8, v9, v7
	v_fma_f32 v5, -v5, v8, v6
	v_div_fmas_f32 v5, v5, v7, v8
	v_div_fixup_f32 v28, v5, s56, v4
.LBB31_1041:
	s_or_b64 exec, exec, s[46:47]
	v_add_u32_e32 v4, 0xf00, v12
	v_cmp_lt_u32_e64 s[44:45], v4, v10
                                        ; implicit-def: $vgpr29
	s_and_saveexec_b64 s[56:57], s[44:45]
	s_cbranch_execz .LBB31_1060
; %bb.1042:
	v_add_u32_e32 v4, v13, v4
	s_movk_i32 s46, 0x1388
	v_mul_lo_u32 v4, v4, s46
	v_mov_b32_e32 v6, 1
	v_cmp_ne_u32_e32 vcc, 0, v4
	s_and_saveexec_b64 s[46:47], vcc
	s_cbranch_execz .LBB31_1057
; %bb.1043:
	v_mov_b32_e32 v5, 0
	v_mov_b32_e32 v8, 1
	;; [unrolled: 1-line block ×3, first 2 shown]
	s_mov_b64 s[60:61], 0xbc8f
	v_mov_b32_e32 v9, 0
	s_mov_b64 s[58:59], 0
	s_brev_b32 s72, -2
	v_mov_b32_e32 v6, v4
	s_branch .LBB31_1045
.LBB31_1044:                            ;   in Loop: Header=BB31_1045 Depth=1
	s_or_b64 exec, exec, s[62:63]
	s_mul_i32 s61, s60, s61
	s_mul_hi_u32 s62, s60, s60
	s_add_i32 s62, s62, s61
	s_add_i32 s62, s62, s61
	s_mul_i32 s63, s60, s60
	s_mul_i32 s61, s62, 3
	s_mul_hi_u32 s73, s63, 3
	s_mul_hi_u32 s60, s62, 3
	s_add_u32 s61, s61, s73
	s_addc_u32 s60, s60, 0
	s_mul_i32 s74, s63, 0x80000001
	s_mul_hi_u32 s73, s63, 0x80000001
	s_add_u32 s61, s74, s61
	s_addc_u32 s61, s73, 0
	s_add_u32 s60, s60, s61
	s_addc_u32 s61, 0, 0
	s_mul_i32 s74, s62, 0x80000001
	s_mul_hi_u32 s73, s62, 0x80000001
	s_add_u32 s60, s74, s60
	s_addc_u32 s61, s73, s61
	s_lshr_b32 s73, s61, 30
	s_lshr_b64 s[60:61], s[60:61], 30
	s_mul_i32 s73, s73, 0x7fffffff
	s_mul_hi_u32 s61, s60, 0x7fffffff
	v_lshrrev_b64 v[29:30], 1, v[6:7]
	s_add_i32 s61, s61, s73
	s_mul_i32 s60, s60, 0x7fffffff
	s_sub_u32 s60, s63, s60
	v_cmp_gt_u64_e32 vcc, 2, v[6:7]
	s_subb_u32 s61, s62, s61
	v_mov_b32_e32 v6, v29
	s_or_b64 s[58:59], vcc, s[58:59]
	v_mov_b32_e32 v7, v30
	s_andn2_b64 exec, exec, s[58:59]
	s_cbranch_execz .LBB31_1056
.LBB31_1045:                            ; =>This Inner Loop Header: Depth=1
	v_and_b32_e32 v4, 1, v6
	v_cmp_eq_u32_e32 vcc, 1, v4
	s_and_saveexec_b64 s[62:63], vcc
	s_cbranch_execz .LBB31_1044
; %bb.1046:                             ;   in Loop: Header=BB31_1045 Depth=1
	v_mad_u64_u32 v[29:30], s[74:75], s60, v8, 0
	v_mul_lo_u32 v8, s61, v8
	v_mul_lo_u32 v9, s60, v9
	v_mul_hi_u32 v4, v29, 5
	v_add3_u32 v32, v30, v9, v8
	v_mad_u64_u32 v[8:9], s[74:75], v32, 5, v[4:5]
	v_mov_b32_e32 v4, v8
	v_mad_u64_u32 v[30:31], s[74:75], v29, 2, v[4:5]
	v_add_co_u32_e32 v8, vcc, v9, v31
	v_addc_co_u32_e64 v9, s[74:75], 0, 0, vcc
	v_mad_u64_u32 v[8:9], s[74:75], v32, 2, v[8:9]
	v_sub_co_u32_e32 v30, vcc, v29, v8
	v_subb_co_u32_e32 v31, vcc, v32, v9, vcc
	v_lshrrev_b64 v[30:31], 1, v[30:31]
	v_add_co_u32_e32 v4, vcc, v30, v8
	v_addc_co_u32_e32 v30, vcc, v31, v9, vcc
	v_alignbit_b32 v4, v30, v4, 30
	v_mad_u64_u32 v[8:9], s[74:75], v4, s72, 0
	v_lshrrev_b32_e32 v30, 30, v30
	v_mov_b32_e32 v4, v9
	v_mad_u64_u32 v[30:31], s[74:75], v30, s72, v[4:5]
	v_sub_co_u32_e32 v8, vcc, v29, v8
	v_subb_co_u32_e32 v9, vcc, v32, v30, vcc
	s_branch .LBB31_1044
.LBB31_1047:
	s_or_b64 exec, exec, s[62:63]
	v_add_u32_e32 v6, 0x80000001, v10
	v_min_u32_e32 v6, v6, v10
	v_add_u32_e32 v7, 0x80000001, v6
	v_min_u32_e32 v8, v7, v6
.LBB31_1048:
	s_or_b64 exec, exec, s[46:47]
	v_mov_b32_e32 v7, 0
	s_movk_i32 s62, 0x1388
	s_mov_b32 s63, 0xbc8f1391
	s_mov_b32 s72, 0xbc8f
	s_brev_b32 s73, 12
	s_mov_b32 s74, 0xf800000
	v_mov_b32_e32 v6, 0x260
.LBB31_1049:                            ; =>This Inner Loop Header: Depth=1
	v_mul_hi_u32 v9, v8, s63
	v_add_f32_e32 v10, 1.0, v7
	s_add_i32 s62, s62, -2
	s_cmp_lg_u32 s62, 0
	v_lshrrev_b32_e32 v9, 15, v9
	v_mul_u32_u24_e32 v11, 0xadc8, v9
	v_sub_u32_e32 v8, v8, v11
	v_mul_lo_u32 v8, v8, s72
	v_mul_u32_u24_e32 v9, 0xd47, v9
	v_xor_b32_e32 v11, 0x7fffffff, v9
	v_sub_u32_e32 v15, 0, v9
	v_cmp_lt_u32_e32 vcc, v8, v9
	v_cndmask_b32_e32 v9, v15, v11, vcc
	v_add_u32_e32 v8, v9, v8
	v_mul_hi_u32 v11, v8, s63
	v_add_u32_e32 v9, -1, v8
	v_cvt_f32_u32_e32 v9, v9
	v_lshrrev_b32_e32 v11, 15, v11
	v_mul_u32_u24_e32 v15, 0xadc8, v11
	v_sub_u32_e32 v8, v8, v15
	v_mul_lo_u32 v8, v8, s72
	v_mul_u32_u24_e32 v11, 0xd47, v11
	v_xor_b32_e32 v15, 0x7fffffff, v11
	v_sub_u32_e32 v32, 0, v11
	v_cmp_lt_u32_e32 vcc, v8, v11
	v_cndmask_b32_e32 v11, v32, v15, vcc
	v_add_u32_e32 v8, v11, v8
	v_mul_hi_u32 v15, v8, s63
	v_add_u32_e32 v11, -1, v8
	v_cvt_f32_u32_e32 v11, v11
	v_fma_f32 v9, v9, s73, 0
	v_lshrrev_b32_e32 v15, 15, v15
	v_mul_u32_u24_e32 v32, 0xadc8, v15
	v_fma_f32 v11, v11, s73, 0
	v_sub_u32_e32 v8, v8, v32
	v_mul_f32_e32 v11, v11, v11
	v_mul_lo_u32 v8, v8, s72
	v_fmac_f32_e32 v11, v9, v9
	v_mul_f32_e32 v9, 0x4f800000, v11
	v_cmp_gt_f32_e32 vcc, s74, v11
	v_mul_u32_u24_e32 v15, 0xd47, v15
	v_cndmask_b32_e32 v9, v11, v9, vcc
	v_xor_b32_e32 v32, 0x7fffffff, v15
	v_sub_u32_e32 v33, 0, v15
	v_sqrt_f32_e32 v11, v9
	v_cmp_lt_u32_e64 s[46:47], v8, v15
	v_cndmask_b32_e64 v15, v33, v32, s[46:47]
	v_add_u32_e32 v8, v15, v8
	v_mul_hi_u32 v32, v8, s63
	v_add_u32_e32 v33, -1, v11
	v_add_u32_e32 v34, 1, v11
	v_fma_f32 v35, -v33, v11, v9
	v_fma_f32 v36, -v34, v11, v9
	v_cmp_ge_f32_e64 s[46:47], 0, v35
	v_cndmask_b32_e64 v11, v11, v33, s[46:47]
	v_cmp_lt_f32_e64 s[46:47], 0, v36
	v_lshrrev_b32_e32 v32, 15, v32
	v_cndmask_b32_e64 v11, v11, v34, s[46:47]
	v_mul_u32_u24_e32 v34, 0xadc8, v32
	v_add_u32_e32 v15, -1, v8
	v_sub_u32_e32 v8, v8, v34
	v_mul_f32_e32 v33, 0x37800000, v11
	v_mul_lo_u32 v8, v8, s72
	v_cndmask_b32_e32 v11, v11, v33, vcc
	v_cmp_class_f32_e32 vcc, v9, v6
	v_cndmask_b32_e32 v9, v11, v9, vcc
	v_mul_u32_u24_e32 v32, 0xd47, v32
	v_cmp_nge_f32_e32 vcc, 1.0, v9
	v_xor_b32_e32 v33, 0x7fffffff, v32
	v_sub_u32_e32 v34, 0, v32
	v_cndmask_b32_e32 v7, v10, v7, vcc
	v_cmp_lt_u32_e32 vcc, v8, v32
	v_cndmask_b32_e32 v10, v34, v33, vcc
	v_add_u32_e32 v8, v10, v8
	v_add_u32_e32 v10, -1, v8
	v_cvt_f32_u32_e32 v10, v10
	v_cvt_f32_u32_e32 v15, v15
	v_add_f32_e32 v9, 1.0, v7
	v_fma_f32 v10, v10, s73, 0
	v_fma_f32 v15, v15, s73, 0
	v_mul_f32_e32 v10, v10, v10
	v_fmac_f32_e32 v10, v15, v15
	v_mul_f32_e32 v11, 0x4f800000, v10
	v_cmp_gt_f32_e32 vcc, s74, v10
	v_cndmask_b32_e32 v10, v10, v11, vcc
	v_sqrt_f32_e32 v11, v10
	v_add_u32_e32 v15, -1, v11
	v_add_u32_e32 v32, 1, v11
	v_fma_f32 v33, -v15, v11, v10
	v_fma_f32 v34, -v32, v11, v10
	v_cmp_ge_f32_e64 s[46:47], 0, v33
	v_cndmask_b32_e64 v11, v11, v15, s[46:47]
	v_cmp_lt_f32_e64 s[46:47], 0, v34
	v_cndmask_b32_e64 v11, v11, v32, s[46:47]
	v_mul_f32_e32 v15, 0x37800000, v11
	v_cndmask_b32_e32 v11, v11, v15, vcc
	v_cmp_class_f32_e32 vcc, v10, v6
	v_cndmask_b32_e32 v10, v11, v10, vcc
	v_cmp_nge_f32_e32 vcc, 1.0, v10
	v_cndmask_b32_e32 v7, v9, v7, vcc
	s_cbranch_scc1 .LBB31_1049
; %bb.1050:
	v_mul_f32_e32 v6, 4.0, v7
	s_mov_b32 s62, 0x459c4000
	v_div_scale_f32 v7, s[46:47], s62, s62, v6
	v_div_scale_f32 v8, vcc, v6, s62, v6
	v_rcp_f32_e32 v9, v7
	v_fma_f32 v10, -v7, v9, 1.0
	v_fmac_f32_e32 v9, v10, v9
	v_mul_f32_e32 v10, v8, v9
	v_fma_f32 v11, -v7, v10, v8
	v_fmac_f32_e32 v10, v11, v9
	v_fma_f32 v7, -v7, v10, v8
	v_div_fmas_f32 v7, v7, v9, v10
	v_div_fixup_f32 v32, v7, s62, v6
.LBB31_1051:
	s_or_b64 exec, exec, s[60:61]
	v_add_f32_e32 v6, v16, v17
	v_cndmask_b32_e64 v6, v16, v6, s[4:5]
	v_add_f32_e32 v7, v18, v6
	v_cndmask_b32_e64 v6, v6, v7, s[6:7]
	;; [unrolled: 2-line block ×15, first 2 shown]
	v_mbcnt_lo_u32_b32 v6, -1, 0
	v_mbcnt_hi_u32_b32 v6, -1, v6
	v_and_b32_e32 v10, 63, v6
	v_cmp_ne_u32_e32 vcc, 63, v10
	v_addc_co_u32_e32 v8, vcc, 0, v6, vcc
	v_lshlrev_b32_e32 v8, 2, v8
	ds_bpermute_b32 v9, v8, v7
	v_min_u32_e32 v8, 0x100, v12
	v_and_b32_e32 v11, 0x3c0, v14
	v_sub_u32_e64 v11, v8, v11 clamp
	v_add_u32_e32 v12, 1, v10
	v_cmp_gt_u32_e64 s[4:5], 62, v10
	s_waitcnt lgkmcnt(0)
	v_add_f32_e32 v9, v7, v9
	v_cmp_lt_u32_e32 vcc, v12, v11
	v_cndmask_b32_e64 v12, 0, 2, s[4:5]
	v_cndmask_b32_e32 v9, v7, v9, vcc
	v_add_lshl_u32 v12, v12, v6, 2
	ds_bpermute_b32 v12, v12, v9
	v_add_u32_e32 v15, 2, v10
	v_cmp_lt_u32_e64 s[4:5], v15, v11
	v_add_u32_e32 v15, 4, v10
	s_waitcnt lgkmcnt(0)
	v_add_f32_e32 v12, v9, v12
	v_cndmask_b32_e64 v9, v9, v12, s[4:5]
	v_cmp_gt_u32_e64 s[4:5], 60, v10
	v_cndmask_b32_e64 v12, 0, 4, s[4:5]
	v_add_lshl_u32 v12, v12, v6, 2
	ds_bpermute_b32 v12, v12, v9
	v_cmp_lt_u32_e64 s[4:5], v15, v11
	v_add_u32_e32 v15, 8, v10
	s_waitcnt lgkmcnt(0)
	v_add_f32_e32 v12, v9, v12
	v_cndmask_b32_e64 v9, v9, v12, s[4:5]
	v_cmp_gt_u32_e64 s[4:5], 56, v10
	v_cndmask_b32_e64 v12, 0, 8, s[4:5]
	v_add_lshl_u32 v12, v12, v6, 2
	ds_bpermute_b32 v12, v12, v9
	;; [unrolled: 9-line block ×3, first 2 shown]
	v_cmp_lt_u32_e64 s[4:5], v15, v11
	v_add_u32_e32 v10, 32, v10
	s_waitcnt lgkmcnt(0)
	v_add_f32_e32 v12, v9, v12
	v_cndmask_b32_e64 v12, v9, v12, s[4:5]
	v_lshlrev_b32_e32 v9, 2, v6
	v_or_b32_e32 v15, 0x80, v9
	ds_bpermute_b32 v15, v15, v12
	v_cmp_lt_u32_e64 s[4:5], v10, v11
	s_waitcnt lgkmcnt(0)
	v_add_f32_e32 v15, v12, v15
	v_cndmask_b32_e64 v10, v12, v15, s[4:5]
	v_cndmask_b32_e32 v7, v7, v10, vcc
	v_cmp_eq_u32_e32 vcc, 0, v6
	s_and_saveexec_b64 s[4:5], vcc
; %bb.1052:
	v_lshrrev_b32_e32 v10, 4, v14
	v_and_b32_e32 v10, 60, v10
	ds_write_b32 v10, v7 offset:96
; %bb.1053:
	s_or_b64 exec, exec, s[4:5]
	v_cmp_gt_u32_e32 vcc, 4, v14
	s_waitcnt lgkmcnt(0)
	s_barrier
	s_and_saveexec_b64 s[6:7], vcc
	s_cbranch_execz .LBB31_1055
; %bb.1054:
	ds_read_b32 v7, v9 offset:96
	v_and_b32_e32 v10, 3, v6
	v_cmp_ne_u32_e32 vcc, 3, v10
	v_addc_co_u32_e32 v6, vcc, 0, v6, vcc
	v_lshlrev_b32_e32 v6, 2, v6
	s_waitcnt lgkmcnt(0)
	ds_bpermute_b32 v6, v6, v7
	v_add_u32_e32 v8, 63, v8
	v_lshrrev_b32_e32 v8, 6, v8
	v_add_u32_e32 v11, 1, v10
	v_cmp_lt_u32_e32 vcc, v11, v8
	s_waitcnt lgkmcnt(0)
	v_add_f32_e32 v6, v7, v6
	v_cndmask_b32_e32 v6, v7, v6, vcc
	v_or_b32_e32 v9, 8, v9
	ds_bpermute_b32 v9, v9, v6
	v_add_u32_e32 v10, 2, v10
	v_cmp_lt_u32_e64 s[4:5], v10, v8
	s_waitcnt lgkmcnt(0)
	v_add_f32_e32 v9, v6, v9
	v_cndmask_b32_e64 v6, v6, v9, s[4:5]
	v_cndmask_b32_e32 v7, v7, v6, vcc
.LBB31_1055:
	s_or_b64 exec, exec, s[6:7]
	s_or_b64 exec, exec, s[58:59]
	v_cmp_eq_u32_e32 vcc, 0, v14
	s_and_b64 exec, exec, vcc
	s_cbranch_execnz .LBB31_24
	s_branch .LBB31_25
.LBB31_1056:
	s_or_b64 exec, exec, s[58:59]
	v_add_u32_e32 v4, 0x80000001, v8
	v_min_u32_e32 v4, v4, v8
	v_add_u32_e32 v5, 0x80000001, v4
	v_min_u32_e32 v6, v5, v4
.LBB31_1057:
	s_or_b64 exec, exec, s[46:47]
	v_mov_b32_e32 v5, 0
	s_movk_i32 s58, 0x1388
	s_mov_b32 s59, 0xbc8f1391
	s_mov_b32 s60, 0xbc8f
	s_brev_b32 s61, 12
	s_mov_b32 s62, 0xf800000
	v_mov_b32_e32 v4, 0x260
.LBB31_1058:                            ; =>This Inner Loop Header: Depth=1
	v_mul_hi_u32 v7, v6, s59
	v_add_f32_e32 v8, 1.0, v5
	s_add_i32 s58, s58, -2
	s_cmp_lg_u32 s58, 0
	v_lshrrev_b32_e32 v7, 15, v7
	v_mul_u32_u24_e32 v9, 0xadc8, v7
	v_sub_u32_e32 v6, v6, v9
	v_mul_lo_u32 v6, v6, s60
	v_mul_u32_u24_e32 v7, 0xd47, v7
	v_xor_b32_e32 v9, 0x7fffffff, v7
	v_sub_u32_e32 v29, 0, v7
	v_cmp_lt_u32_e32 vcc, v6, v7
	v_cndmask_b32_e32 v7, v29, v9, vcc
	v_add_u32_e32 v6, v7, v6
	v_mul_hi_u32 v9, v6, s59
	v_add_u32_e32 v7, -1, v6
	v_cvt_f32_u32_e32 v7, v7
	v_lshrrev_b32_e32 v9, 15, v9
	v_mul_u32_u24_e32 v29, 0xadc8, v9
	v_sub_u32_e32 v6, v6, v29
	v_mul_lo_u32 v6, v6, s60
	v_mul_u32_u24_e32 v9, 0xd47, v9
	v_xor_b32_e32 v29, 0x7fffffff, v9
	v_sub_u32_e32 v30, 0, v9
	v_cmp_lt_u32_e32 vcc, v6, v9
	v_cndmask_b32_e32 v9, v30, v29, vcc
	v_add_u32_e32 v6, v9, v6
	v_mul_hi_u32 v29, v6, s59
	v_add_u32_e32 v9, -1, v6
	v_cvt_f32_u32_e32 v9, v9
	v_fma_f32 v7, v7, s61, 0
	v_lshrrev_b32_e32 v29, 15, v29
	v_mul_u32_u24_e32 v30, 0xadc8, v29
	v_fma_f32 v9, v9, s61, 0
	v_sub_u32_e32 v6, v6, v30
	v_mul_f32_e32 v9, v9, v9
	v_mul_lo_u32 v6, v6, s60
	v_fmac_f32_e32 v9, v7, v7
	v_mul_f32_e32 v7, 0x4f800000, v9
	v_cmp_gt_f32_e32 vcc, s62, v9
	v_mul_u32_u24_e32 v29, 0xd47, v29
	v_cndmask_b32_e32 v7, v9, v7, vcc
	v_xor_b32_e32 v30, 0x7fffffff, v29
	v_sub_u32_e32 v31, 0, v29
	v_sqrt_f32_e32 v9, v7
	v_cmp_lt_u32_e64 s[46:47], v6, v29
	v_cndmask_b32_e64 v29, v31, v30, s[46:47]
	v_add_u32_e32 v6, v29, v6
	v_mul_hi_u32 v30, v6, s59
	v_add_u32_e32 v31, -1, v9
	v_add_u32_e32 v32, 1, v9
	v_fma_f32 v33, -v31, v9, v7
	v_fma_f32 v34, -v32, v9, v7
	v_cmp_ge_f32_e64 s[46:47], 0, v33
	v_cndmask_b32_e64 v9, v9, v31, s[46:47]
	v_cmp_lt_f32_e64 s[46:47], 0, v34
	v_lshrrev_b32_e32 v30, 15, v30
	v_cndmask_b32_e64 v9, v9, v32, s[46:47]
	v_mul_u32_u24_e32 v32, 0xadc8, v30
	v_add_u32_e32 v29, -1, v6
	v_sub_u32_e32 v6, v6, v32
	v_mul_f32_e32 v31, 0x37800000, v9
	v_mul_lo_u32 v6, v6, s60
	v_cndmask_b32_e32 v9, v9, v31, vcc
	v_cmp_class_f32_e32 vcc, v7, v4
	v_cndmask_b32_e32 v7, v9, v7, vcc
	v_mul_u32_u24_e32 v30, 0xd47, v30
	v_cmp_nge_f32_e32 vcc, 1.0, v7
	v_xor_b32_e32 v31, 0x7fffffff, v30
	v_sub_u32_e32 v32, 0, v30
	v_cndmask_b32_e32 v5, v8, v5, vcc
	v_cmp_lt_u32_e32 vcc, v6, v30
	v_cndmask_b32_e32 v8, v32, v31, vcc
	v_add_u32_e32 v6, v8, v6
	v_add_u32_e32 v8, -1, v6
	v_cvt_f32_u32_e32 v8, v8
	v_cvt_f32_u32_e32 v29, v29
	v_add_f32_e32 v7, 1.0, v5
	v_fma_f32 v8, v8, s61, 0
	v_fma_f32 v29, v29, s61, 0
	v_mul_f32_e32 v8, v8, v8
	v_fmac_f32_e32 v8, v29, v29
	v_mul_f32_e32 v9, 0x4f800000, v8
	v_cmp_gt_f32_e32 vcc, s62, v8
	v_cndmask_b32_e32 v8, v8, v9, vcc
	v_sqrt_f32_e32 v9, v8
	v_add_u32_e32 v29, -1, v9
	v_add_u32_e32 v30, 1, v9
	v_fma_f32 v31, -v29, v9, v8
	v_fma_f32 v32, -v30, v9, v8
	v_cmp_ge_f32_e64 s[46:47], 0, v31
	v_cndmask_b32_e64 v9, v9, v29, s[46:47]
	v_cmp_lt_f32_e64 s[46:47], 0, v32
	v_cndmask_b32_e64 v9, v9, v30, s[46:47]
	v_mul_f32_e32 v29, 0x37800000, v9
	v_cndmask_b32_e32 v9, v9, v29, vcc
	v_cmp_class_f32_e32 vcc, v8, v4
	v_cndmask_b32_e32 v8, v9, v8, vcc
	v_cmp_nge_f32_e32 vcc, 1.0, v8
	v_cndmask_b32_e32 v5, v7, v5, vcc
	s_cbranch_scc1 .LBB31_1058
; %bb.1059:
	v_mul_f32_e32 v4, 4.0, v5
	s_mov_b32 s58, 0x459c4000
	v_div_scale_f32 v5, s[46:47], s58, s58, v4
	v_div_scale_f32 v6, vcc, v4, s58, v4
	v_rcp_f32_e32 v7, v5
	v_fma_f32 v8, -v5, v7, 1.0
	v_fmac_f32_e32 v7, v8, v7
	v_mul_f32_e32 v8, v6, v7
	v_fma_f32 v9, -v5, v8, v6
	v_fmac_f32_e32 v8, v9, v7
	v_fma_f32 v5, -v5, v8, v6
	v_div_fmas_f32 v5, v5, v7, v8
	v_div_fixup_f32 v29, v5, s58, v4
.LBB31_1060:
	s_or_b64 exec, exec, s[56:57]
	v_or_b32_e32 v4, 0x1000, v12
	v_cmp_lt_u32_e64 s[46:47], v4, v10
                                        ; implicit-def: $vgpr30
	s_and_saveexec_b64 s[58:59], s[46:47]
	s_cbranch_execz .LBB31_1070
; %bb.1061:
	v_add_u32_e32 v4, v13, v4
	s_movk_i32 s56, 0x1388
	v_mul_lo_u32 v4, v4, s56
	v_mov_b32_e32 v6, 1
	v_cmp_ne_u32_e32 vcc, 0, v4
	s_and_saveexec_b64 s[56:57], vcc
	s_cbranch_execz .LBB31_1067
; %bb.1062:
	v_mov_b32_e32 v5, 0
	v_mov_b32_e32 v8, 1
	v_mov_b32_e32 v7, v5
	s_mov_b64 s[62:63], 0xbc8f
	v_mov_b32_e32 v9, 0
	s_mov_b64 s[60:61], 0
	s_brev_b32 s74, -2
	v_mov_b32_e32 v6, v4
	s_branch .LBB31_1064
.LBB31_1063:                            ;   in Loop: Header=BB31_1064 Depth=1
	s_or_b64 exec, exec, s[72:73]
	s_mul_i32 s63, s62, s63
	s_mul_hi_u32 s72, s62, s62
	s_add_i32 s72, s72, s63
	s_add_i32 s72, s72, s63
	s_mul_i32 s73, s62, s62
	s_mul_i32 s63, s72, 3
	s_mul_hi_u32 s75, s73, 3
	s_mul_hi_u32 s62, s72, 3
	s_add_u32 s63, s63, s75
	s_addc_u32 s62, s62, 0
	s_mul_i32 s76, s73, 0x80000001
	s_mul_hi_u32 s75, s73, 0x80000001
	s_add_u32 s63, s76, s63
	s_addc_u32 s63, s75, 0
	s_add_u32 s62, s62, s63
	s_addc_u32 s63, 0, 0
	s_mul_i32 s76, s72, 0x80000001
	s_mul_hi_u32 s75, s72, 0x80000001
	s_add_u32 s62, s76, s62
	s_addc_u32 s63, s75, s63
	s_lshr_b32 s75, s63, 30
	s_lshr_b64 s[62:63], s[62:63], 30
	s_mul_i32 s75, s75, 0x7fffffff
	s_mul_hi_u32 s63, s62, 0x7fffffff
	v_lshrrev_b64 v[30:31], 1, v[6:7]
	s_add_i32 s63, s63, s75
	s_mul_i32 s62, s62, 0x7fffffff
	s_sub_u32 s62, s73, s62
	v_cmp_gt_u64_e32 vcc, 2, v[6:7]
	s_subb_u32 s63, s72, s63
	v_mov_b32_e32 v6, v30
	s_or_b64 s[60:61], vcc, s[60:61]
	v_mov_b32_e32 v7, v31
	s_andn2_b64 exec, exec, s[60:61]
	s_cbranch_execz .LBB31_1066
.LBB31_1064:                            ; =>This Inner Loop Header: Depth=1
	v_and_b32_e32 v4, 1, v6
	v_cmp_eq_u32_e32 vcc, 1, v4
	s_and_saveexec_b64 s[72:73], vcc
	s_cbranch_execz .LBB31_1063
; %bb.1065:                             ;   in Loop: Header=BB31_1064 Depth=1
	v_mad_u64_u32 v[30:31], s[76:77], s62, v8, 0
	v_mul_lo_u32 v8, s63, v8
	v_mul_lo_u32 v9, s62, v9
	v_mul_hi_u32 v4, v30, 5
	v_add3_u32 v33, v31, v9, v8
	v_mad_u64_u32 v[8:9], s[76:77], v33, 5, v[4:5]
	v_mov_b32_e32 v4, v8
	v_mad_u64_u32 v[31:32], s[76:77], v30, 2, v[4:5]
	v_add_co_u32_e32 v8, vcc, v9, v32
	v_addc_co_u32_e64 v9, s[76:77], 0, 0, vcc
	v_mad_u64_u32 v[8:9], s[76:77], v33, 2, v[8:9]
	v_sub_co_u32_e32 v31, vcc, v30, v8
	v_subb_co_u32_e32 v32, vcc, v33, v9, vcc
	v_lshrrev_b64 v[31:32], 1, v[31:32]
	v_add_co_u32_e32 v4, vcc, v31, v8
	v_addc_co_u32_e32 v31, vcc, v32, v9, vcc
	v_alignbit_b32 v4, v31, v4, 30
	v_mad_u64_u32 v[8:9], s[76:77], v4, s74, 0
	v_lshrrev_b32_e32 v31, 30, v31
	v_mov_b32_e32 v4, v9
	v_mad_u64_u32 v[31:32], s[76:77], v31, s74, v[4:5]
	v_sub_co_u32_e32 v8, vcc, v30, v8
	v_subb_co_u32_e32 v9, vcc, v33, v31, vcc
	s_branch .LBB31_1063
.LBB31_1066:
	s_or_b64 exec, exec, s[60:61]
	v_add_u32_e32 v4, 0x80000001, v8
	v_min_u32_e32 v4, v4, v8
	v_add_u32_e32 v5, 0x80000001, v4
	v_min_u32_e32 v6, v5, v4
.LBB31_1067:
	s_or_b64 exec, exec, s[56:57]
	v_mov_b32_e32 v5, 0
	s_movk_i32 s60, 0x1388
	s_mov_b32 s61, 0xbc8f1391
	s_mov_b32 s62, 0xbc8f
	s_brev_b32 s63, 12
	s_mov_b32 s72, 0xf800000
	v_mov_b32_e32 v4, 0x260
.LBB31_1068:                            ; =>This Inner Loop Header: Depth=1
	v_mul_hi_u32 v7, v6, s61
	v_add_f32_e32 v8, 1.0, v5
	s_add_i32 s60, s60, -2
	s_cmp_lg_u32 s60, 0
	v_lshrrev_b32_e32 v7, 15, v7
	v_mul_u32_u24_e32 v9, 0xadc8, v7
	v_sub_u32_e32 v6, v6, v9
	v_mul_lo_u32 v6, v6, s62
	v_mul_u32_u24_e32 v7, 0xd47, v7
	v_xor_b32_e32 v9, 0x7fffffff, v7
	v_sub_u32_e32 v30, 0, v7
	v_cmp_lt_u32_e32 vcc, v6, v7
	v_cndmask_b32_e32 v7, v30, v9, vcc
	v_add_u32_e32 v6, v7, v6
	v_mul_hi_u32 v9, v6, s61
	v_add_u32_e32 v7, -1, v6
	v_cvt_f32_u32_e32 v7, v7
	v_lshrrev_b32_e32 v9, 15, v9
	v_mul_u32_u24_e32 v30, 0xadc8, v9
	v_sub_u32_e32 v6, v6, v30
	v_mul_lo_u32 v6, v6, s62
	v_mul_u32_u24_e32 v9, 0xd47, v9
	v_xor_b32_e32 v30, 0x7fffffff, v9
	v_sub_u32_e32 v31, 0, v9
	v_cmp_lt_u32_e32 vcc, v6, v9
	v_cndmask_b32_e32 v9, v31, v30, vcc
	v_add_u32_e32 v6, v9, v6
	v_mul_hi_u32 v30, v6, s61
	v_add_u32_e32 v9, -1, v6
	v_cvt_f32_u32_e32 v9, v9
	v_fma_f32 v7, v7, s63, 0
	v_lshrrev_b32_e32 v30, 15, v30
	v_mul_u32_u24_e32 v31, 0xadc8, v30
	v_fma_f32 v9, v9, s63, 0
	v_sub_u32_e32 v6, v6, v31
	v_mul_f32_e32 v9, v9, v9
	v_mul_lo_u32 v6, v6, s62
	v_fmac_f32_e32 v9, v7, v7
	v_mul_f32_e32 v7, 0x4f800000, v9
	v_cmp_gt_f32_e32 vcc, s72, v9
	v_mul_u32_u24_e32 v30, 0xd47, v30
	v_cndmask_b32_e32 v7, v9, v7, vcc
	v_xor_b32_e32 v31, 0x7fffffff, v30
	v_sub_u32_e32 v32, 0, v30
	v_sqrt_f32_e32 v9, v7
	v_cmp_lt_u32_e64 s[56:57], v6, v30
	v_cndmask_b32_e64 v30, v32, v31, s[56:57]
	v_add_u32_e32 v6, v30, v6
	v_mul_hi_u32 v31, v6, s61
	v_add_u32_e32 v32, -1, v9
	v_add_u32_e32 v33, 1, v9
	v_fma_f32 v34, -v32, v9, v7
	v_fma_f32 v35, -v33, v9, v7
	v_cmp_ge_f32_e64 s[56:57], 0, v34
	v_cndmask_b32_e64 v9, v9, v32, s[56:57]
	v_cmp_lt_f32_e64 s[56:57], 0, v35
	v_lshrrev_b32_e32 v31, 15, v31
	v_cndmask_b32_e64 v9, v9, v33, s[56:57]
	v_mul_u32_u24_e32 v33, 0xadc8, v31
	v_add_u32_e32 v30, -1, v6
	v_sub_u32_e32 v6, v6, v33
	v_mul_f32_e32 v32, 0x37800000, v9
	v_mul_lo_u32 v6, v6, s62
	v_cndmask_b32_e32 v9, v9, v32, vcc
	v_cmp_class_f32_e32 vcc, v7, v4
	v_cndmask_b32_e32 v7, v9, v7, vcc
	v_mul_u32_u24_e32 v31, 0xd47, v31
	v_cmp_nge_f32_e32 vcc, 1.0, v7
	v_xor_b32_e32 v32, 0x7fffffff, v31
	v_sub_u32_e32 v33, 0, v31
	v_cndmask_b32_e32 v5, v8, v5, vcc
	v_cmp_lt_u32_e32 vcc, v6, v31
	v_cndmask_b32_e32 v8, v33, v32, vcc
	v_add_u32_e32 v6, v8, v6
	v_add_u32_e32 v8, -1, v6
	v_cvt_f32_u32_e32 v8, v8
	v_cvt_f32_u32_e32 v30, v30
	v_add_f32_e32 v7, 1.0, v5
	v_fma_f32 v8, v8, s63, 0
	v_fma_f32 v30, v30, s63, 0
	v_mul_f32_e32 v8, v8, v8
	v_fmac_f32_e32 v8, v30, v30
	v_mul_f32_e32 v9, 0x4f800000, v8
	v_cmp_gt_f32_e32 vcc, s72, v8
	v_cndmask_b32_e32 v8, v8, v9, vcc
	v_sqrt_f32_e32 v9, v8
	v_add_u32_e32 v30, -1, v9
	v_add_u32_e32 v31, 1, v9
	v_fma_f32 v32, -v30, v9, v8
	v_fma_f32 v33, -v31, v9, v8
	v_cmp_ge_f32_e64 s[56:57], 0, v32
	v_cndmask_b32_e64 v9, v9, v30, s[56:57]
	v_cmp_lt_f32_e64 s[56:57], 0, v33
	v_cndmask_b32_e64 v9, v9, v31, s[56:57]
	v_mul_f32_e32 v30, 0x37800000, v9
	v_cndmask_b32_e32 v9, v9, v30, vcc
	v_cmp_class_f32_e32 vcc, v8, v4
	v_cndmask_b32_e32 v8, v9, v8, vcc
	v_cmp_nge_f32_e32 vcc, 1.0, v8
	v_cndmask_b32_e32 v5, v7, v5, vcc
	s_cbranch_scc1 .LBB31_1068
; %bb.1069:
	v_mul_f32_e32 v4, 4.0, v5
	s_mov_b32 s60, 0x459c4000
	v_div_scale_f32 v5, s[56:57], s60, s60, v4
	v_div_scale_f32 v6, vcc, v4, s60, v4
	v_rcp_f32_e32 v7, v5
	v_fma_f32 v8, -v5, v7, 1.0
	v_fmac_f32_e32 v7, v8, v7
	v_mul_f32_e32 v8, v6, v7
	v_fma_f32 v9, -v5, v8, v6
	v_fmac_f32_e32 v8, v9, v7
	v_fma_f32 v5, -v5, v8, v6
	v_div_fmas_f32 v5, v5, v7, v8
	v_div_fixup_f32 v30, v5, s60, v4
.LBB31_1070:
	s_or_b64 exec, exec, s[58:59]
	v_add_u32_e32 v4, 0x1100, v12
	v_cmp_lt_u32_e64 s[56:57], v4, v10
                                        ; implicit-def: $vgpr31
	s_and_saveexec_b64 s[60:61], s[56:57]
	s_cbranch_execz .LBB31_1080
; %bb.1071:
	v_add_u32_e32 v4, v13, v4
	s_movk_i32 s58, 0x1388
	v_mul_lo_u32 v4, v4, s58
	v_mov_b32_e32 v6, 1
	v_cmp_ne_u32_e32 vcc, 0, v4
	s_and_saveexec_b64 s[58:59], vcc
	s_cbranch_execz .LBB31_1077
; %bb.1072:
	v_mov_b32_e32 v5, 0
	v_mov_b32_e32 v8, 1
	v_mov_b32_e32 v7, v5
	s_mov_b64 s[72:73], 0xbc8f
	v_mov_b32_e32 v9, 0
	s_mov_b64 s[62:63], 0
	s_brev_b32 s76, -2
	v_mov_b32_e32 v6, v4
	s_branch .LBB31_1074
.LBB31_1073:                            ;   in Loop: Header=BB31_1074 Depth=1
	s_or_b64 exec, exec, s[74:75]
	s_mul_i32 s73, s72, s73
	s_mul_hi_u32 s74, s72, s72
	s_add_i32 s74, s74, s73
	s_add_i32 s74, s74, s73
	s_mul_i32 s75, s72, s72
	s_mul_i32 s73, s74, 3
	s_mul_hi_u32 s77, s75, 3
	s_mul_hi_u32 s72, s74, 3
	s_add_u32 s73, s73, s77
	s_addc_u32 s72, s72, 0
	s_mul_i32 s78, s75, 0x80000001
	s_mul_hi_u32 s77, s75, 0x80000001
	s_add_u32 s73, s78, s73
	s_addc_u32 s73, s77, 0
	s_add_u32 s72, s72, s73
	s_addc_u32 s73, 0, 0
	s_mul_i32 s78, s74, 0x80000001
	s_mul_hi_u32 s77, s74, 0x80000001
	s_add_u32 s72, s78, s72
	s_addc_u32 s73, s77, s73
	s_lshr_b32 s77, s73, 30
	s_lshr_b64 s[72:73], s[72:73], 30
	s_mul_i32 s77, s77, 0x7fffffff
	s_mul_hi_u32 s73, s72, 0x7fffffff
	v_lshrrev_b64 v[31:32], 1, v[6:7]
	s_add_i32 s73, s73, s77
	s_mul_i32 s72, s72, 0x7fffffff
	s_sub_u32 s72, s75, s72
	v_cmp_gt_u64_e32 vcc, 2, v[6:7]
	s_subb_u32 s73, s74, s73
	v_mov_b32_e32 v6, v31
	s_or_b64 s[62:63], vcc, s[62:63]
	v_mov_b32_e32 v7, v32
	s_andn2_b64 exec, exec, s[62:63]
	s_cbranch_execz .LBB31_1076
.LBB31_1074:                            ; =>This Inner Loop Header: Depth=1
	v_and_b32_e32 v4, 1, v6
	v_cmp_eq_u32_e32 vcc, 1, v4
	s_and_saveexec_b64 s[74:75], vcc
	s_cbranch_execz .LBB31_1073
; %bb.1075:                             ;   in Loop: Header=BB31_1074 Depth=1
	v_mad_u64_u32 v[31:32], s[78:79], s72, v8, 0
	v_mul_lo_u32 v8, s73, v8
	v_mul_lo_u32 v9, s72, v9
	v_mul_hi_u32 v4, v31, 5
	v_add3_u32 v34, v32, v9, v8
	v_mad_u64_u32 v[8:9], s[78:79], v34, 5, v[4:5]
	v_mov_b32_e32 v4, v8
	v_mad_u64_u32 v[32:33], s[78:79], v31, 2, v[4:5]
	v_add_co_u32_e32 v8, vcc, v9, v33
	v_addc_co_u32_e64 v9, s[78:79], 0, 0, vcc
	v_mad_u64_u32 v[8:9], s[78:79], v34, 2, v[8:9]
	v_sub_co_u32_e32 v32, vcc, v31, v8
	v_subb_co_u32_e32 v33, vcc, v34, v9, vcc
	v_lshrrev_b64 v[32:33], 1, v[32:33]
	v_add_co_u32_e32 v4, vcc, v32, v8
	v_addc_co_u32_e32 v32, vcc, v33, v9, vcc
	v_alignbit_b32 v4, v32, v4, 30
	v_mad_u64_u32 v[8:9], s[78:79], v4, s76, 0
	v_lshrrev_b32_e32 v32, 30, v32
	v_mov_b32_e32 v4, v9
	v_mad_u64_u32 v[32:33], s[78:79], v32, s76, v[4:5]
	v_sub_co_u32_e32 v8, vcc, v31, v8
	v_subb_co_u32_e32 v9, vcc, v34, v32, vcc
	s_branch .LBB31_1073
.LBB31_1076:
	s_or_b64 exec, exec, s[62:63]
	v_add_u32_e32 v4, 0x80000001, v8
	v_min_u32_e32 v4, v4, v8
	v_add_u32_e32 v5, 0x80000001, v4
	v_min_u32_e32 v6, v5, v4
.LBB31_1077:
	s_or_b64 exec, exec, s[58:59]
	v_mov_b32_e32 v5, 0
	s_movk_i32 s62, 0x1388
	s_mov_b32 s63, 0xbc8f1391
	s_mov_b32 s72, 0xbc8f
	s_brev_b32 s73, 12
	s_mov_b32 s74, 0xf800000
	v_mov_b32_e32 v4, 0x260
.LBB31_1078:                            ; =>This Inner Loop Header: Depth=1
	v_mul_hi_u32 v7, v6, s63
	v_add_f32_e32 v8, 1.0, v5
	s_add_i32 s62, s62, -2
	s_cmp_lg_u32 s62, 0
	v_lshrrev_b32_e32 v7, 15, v7
	v_mul_u32_u24_e32 v9, 0xadc8, v7
	v_sub_u32_e32 v6, v6, v9
	v_mul_lo_u32 v6, v6, s72
	v_mul_u32_u24_e32 v7, 0xd47, v7
	v_xor_b32_e32 v9, 0x7fffffff, v7
	v_sub_u32_e32 v31, 0, v7
	v_cmp_lt_u32_e32 vcc, v6, v7
	v_cndmask_b32_e32 v7, v31, v9, vcc
	v_add_u32_e32 v6, v7, v6
	v_mul_hi_u32 v9, v6, s63
	v_add_u32_e32 v7, -1, v6
	v_cvt_f32_u32_e32 v7, v7
	v_lshrrev_b32_e32 v9, 15, v9
	v_mul_u32_u24_e32 v31, 0xadc8, v9
	v_sub_u32_e32 v6, v6, v31
	v_mul_lo_u32 v6, v6, s72
	v_mul_u32_u24_e32 v9, 0xd47, v9
	v_xor_b32_e32 v31, 0x7fffffff, v9
	v_sub_u32_e32 v32, 0, v9
	v_cmp_lt_u32_e32 vcc, v6, v9
	v_cndmask_b32_e32 v9, v32, v31, vcc
	v_add_u32_e32 v6, v9, v6
	v_mul_hi_u32 v31, v6, s63
	v_add_u32_e32 v9, -1, v6
	v_cvt_f32_u32_e32 v9, v9
	v_fma_f32 v7, v7, s73, 0
	v_lshrrev_b32_e32 v31, 15, v31
	v_mul_u32_u24_e32 v32, 0xadc8, v31
	v_fma_f32 v9, v9, s73, 0
	v_sub_u32_e32 v6, v6, v32
	v_mul_f32_e32 v9, v9, v9
	v_mul_lo_u32 v6, v6, s72
	v_fmac_f32_e32 v9, v7, v7
	v_mul_f32_e32 v7, 0x4f800000, v9
	v_cmp_gt_f32_e32 vcc, s74, v9
	v_mul_u32_u24_e32 v31, 0xd47, v31
	v_cndmask_b32_e32 v7, v9, v7, vcc
	v_xor_b32_e32 v32, 0x7fffffff, v31
	v_sub_u32_e32 v33, 0, v31
	v_sqrt_f32_e32 v9, v7
	v_cmp_lt_u32_e64 s[58:59], v6, v31
	v_cndmask_b32_e64 v31, v33, v32, s[58:59]
	v_add_u32_e32 v6, v31, v6
	v_mul_hi_u32 v32, v6, s63
	v_add_u32_e32 v33, -1, v9
	v_add_u32_e32 v34, 1, v9
	v_fma_f32 v35, -v33, v9, v7
	v_fma_f32 v36, -v34, v9, v7
	v_cmp_ge_f32_e64 s[58:59], 0, v35
	v_cndmask_b32_e64 v9, v9, v33, s[58:59]
	v_cmp_lt_f32_e64 s[58:59], 0, v36
	v_lshrrev_b32_e32 v32, 15, v32
	v_cndmask_b32_e64 v9, v9, v34, s[58:59]
	v_mul_u32_u24_e32 v34, 0xadc8, v32
	v_add_u32_e32 v31, -1, v6
	v_sub_u32_e32 v6, v6, v34
	v_mul_f32_e32 v33, 0x37800000, v9
	v_mul_lo_u32 v6, v6, s72
	v_cndmask_b32_e32 v9, v9, v33, vcc
	v_cmp_class_f32_e32 vcc, v7, v4
	v_cndmask_b32_e32 v7, v9, v7, vcc
	v_mul_u32_u24_e32 v32, 0xd47, v32
	v_cmp_nge_f32_e32 vcc, 1.0, v7
	v_xor_b32_e32 v33, 0x7fffffff, v32
	v_sub_u32_e32 v34, 0, v32
	v_cndmask_b32_e32 v5, v8, v5, vcc
	v_cmp_lt_u32_e32 vcc, v6, v32
	v_cndmask_b32_e32 v8, v34, v33, vcc
	v_add_u32_e32 v6, v8, v6
	v_add_u32_e32 v8, -1, v6
	v_cvt_f32_u32_e32 v8, v8
	v_cvt_f32_u32_e32 v31, v31
	v_add_f32_e32 v7, 1.0, v5
	v_fma_f32 v8, v8, s73, 0
	v_fma_f32 v31, v31, s73, 0
	v_mul_f32_e32 v8, v8, v8
	v_fmac_f32_e32 v8, v31, v31
	v_mul_f32_e32 v9, 0x4f800000, v8
	v_cmp_gt_f32_e32 vcc, s74, v8
	v_cndmask_b32_e32 v8, v8, v9, vcc
	v_sqrt_f32_e32 v9, v8
	v_add_u32_e32 v31, -1, v9
	v_add_u32_e32 v32, 1, v9
	v_fma_f32 v33, -v31, v9, v8
	v_fma_f32 v34, -v32, v9, v8
	v_cmp_ge_f32_e64 s[58:59], 0, v33
	v_cndmask_b32_e64 v9, v9, v31, s[58:59]
	v_cmp_lt_f32_e64 s[58:59], 0, v34
	v_cndmask_b32_e64 v9, v9, v32, s[58:59]
	v_mul_f32_e32 v31, 0x37800000, v9
	v_cndmask_b32_e32 v9, v9, v31, vcc
	v_cmp_class_f32_e32 vcc, v8, v4
	v_cndmask_b32_e32 v8, v9, v8, vcc
	v_cmp_nge_f32_e32 vcc, 1.0, v8
	v_cndmask_b32_e32 v5, v7, v5, vcc
	s_cbranch_scc1 .LBB31_1078
; %bb.1079:
	v_mul_f32_e32 v4, 4.0, v5
	s_mov_b32 s62, 0x459c4000
	v_div_scale_f32 v5, s[58:59], s62, s62, v4
	v_div_scale_f32 v6, vcc, v4, s62, v4
	v_rcp_f32_e32 v7, v5
	v_fma_f32 v8, -v5, v7, 1.0
	v_fmac_f32_e32 v7, v8, v7
	v_mul_f32_e32 v8, v6, v7
	v_fma_f32 v9, -v5, v8, v6
	v_fmac_f32_e32 v8, v9, v7
	v_fma_f32 v5, -v5, v8, v6
	v_div_fmas_f32 v5, v5, v7, v8
	v_div_fixup_f32 v31, v5, s62, v4
.LBB31_1080:
	s_or_b64 exec, exec, s[60:61]
	v_add_u32_e32 v4, 0x1200, v12
	v_cmp_lt_u32_e64 s[58:59], v4, v10
                                        ; implicit-def: $vgpr32
	s_and_saveexec_b64 s[62:63], s[58:59]
	s_cbranch_execz .LBB31_1090
; %bb.1081:
	v_add_u32_e32 v4, v13, v4
	s_movk_i32 s60, 0x1388
	v_mul_lo_u32 v4, v4, s60
	v_mov_b32_e32 v6, 1
	v_cmp_ne_u32_e32 vcc, 0, v4
	s_and_saveexec_b64 s[60:61], vcc
	s_cbranch_execz .LBB31_1087
; %bb.1082:
	v_mov_b32_e32 v5, 0
	v_mov_b32_e32 v8, 1
	;; [unrolled: 1-line block ×3, first 2 shown]
	s_mov_b64 s[74:75], 0xbc8f
	v_mov_b32_e32 v9, 0
	s_mov_b64 s[72:73], 0
	s_brev_b32 s78, -2
	v_mov_b32_e32 v6, v4
	s_branch .LBB31_1084
.LBB31_1083:                            ;   in Loop: Header=BB31_1084 Depth=1
	s_or_b64 exec, exec, s[76:77]
	s_mul_i32 s75, s74, s75
	s_mul_hi_u32 s76, s74, s74
	s_add_i32 s76, s76, s75
	s_add_i32 s76, s76, s75
	s_mul_i32 s77, s74, s74
	s_mul_i32 s75, s76, 3
	s_mul_hi_u32 s79, s77, 3
	s_mul_hi_u32 s74, s76, 3
	s_add_u32 s75, s75, s79
	s_addc_u32 s74, s74, 0
	s_mul_i32 s88, s77, 0x80000001
	s_mul_hi_u32 s79, s77, 0x80000001
	s_add_u32 s75, s88, s75
	s_addc_u32 s75, s79, 0
	s_add_u32 s74, s74, s75
	s_addc_u32 s75, 0, 0
	s_mul_i32 s88, s76, 0x80000001
	s_mul_hi_u32 s79, s76, 0x80000001
	s_add_u32 s74, s88, s74
	s_addc_u32 s75, s79, s75
	s_lshr_b32 s79, s75, 30
	s_lshr_b64 s[74:75], s[74:75], 30
	s_mul_i32 s79, s79, 0x7fffffff
	s_mul_hi_u32 s75, s74, 0x7fffffff
	v_lshrrev_b64 v[32:33], 1, v[6:7]
	s_add_i32 s75, s75, s79
	s_mul_i32 s74, s74, 0x7fffffff
	s_sub_u32 s74, s77, s74
	v_cmp_gt_u64_e32 vcc, 2, v[6:7]
	s_subb_u32 s75, s76, s75
	v_mov_b32_e32 v6, v32
	s_or_b64 s[72:73], vcc, s[72:73]
	v_mov_b32_e32 v7, v33
	s_andn2_b64 exec, exec, s[72:73]
	s_cbranch_execz .LBB31_1086
.LBB31_1084:                            ; =>This Inner Loop Header: Depth=1
	v_and_b32_e32 v4, 1, v6
	v_cmp_eq_u32_e32 vcc, 1, v4
	s_and_saveexec_b64 s[76:77], vcc
	s_cbranch_execz .LBB31_1083
; %bb.1085:                             ;   in Loop: Header=BB31_1084 Depth=1
	v_mad_u64_u32 v[32:33], s[88:89], s74, v8, 0
	v_mul_lo_u32 v8, s75, v8
	v_mul_lo_u32 v9, s74, v9
	v_mul_hi_u32 v4, v32, 5
	v_add3_u32 v35, v33, v9, v8
	v_mad_u64_u32 v[8:9], s[88:89], v35, 5, v[4:5]
	v_mov_b32_e32 v4, v8
	v_mad_u64_u32 v[33:34], s[88:89], v32, 2, v[4:5]
	v_add_co_u32_e32 v8, vcc, v9, v34
	v_addc_co_u32_e64 v9, s[88:89], 0, 0, vcc
	v_mad_u64_u32 v[8:9], s[88:89], v35, 2, v[8:9]
	v_sub_co_u32_e32 v33, vcc, v32, v8
	v_subb_co_u32_e32 v34, vcc, v35, v9, vcc
	v_lshrrev_b64 v[33:34], 1, v[33:34]
	v_add_co_u32_e32 v4, vcc, v33, v8
	v_addc_co_u32_e32 v33, vcc, v34, v9, vcc
	v_alignbit_b32 v4, v33, v4, 30
	v_mad_u64_u32 v[8:9], s[88:89], v4, s78, 0
	v_lshrrev_b32_e32 v33, 30, v33
	v_mov_b32_e32 v4, v9
	v_mad_u64_u32 v[33:34], s[88:89], v33, s78, v[4:5]
	v_sub_co_u32_e32 v8, vcc, v32, v8
	v_subb_co_u32_e32 v9, vcc, v35, v33, vcc
	s_branch .LBB31_1083
.LBB31_1086:
	s_or_b64 exec, exec, s[72:73]
	v_add_u32_e32 v4, 0x80000001, v8
	v_min_u32_e32 v4, v4, v8
	v_add_u32_e32 v5, 0x80000001, v4
	v_min_u32_e32 v6, v5, v4
.LBB31_1087:
	s_or_b64 exec, exec, s[60:61]
	v_mov_b32_e32 v5, 0
	s_movk_i32 s72, 0x1388
	s_mov_b32 s73, 0xbc8f1391
	s_mov_b32 s74, 0xbc8f
	s_brev_b32 s75, 12
	s_mov_b32 s76, 0xf800000
	v_mov_b32_e32 v4, 0x260
.LBB31_1088:                            ; =>This Inner Loop Header: Depth=1
	v_mul_hi_u32 v7, v6, s73
	v_add_f32_e32 v8, 1.0, v5
	s_add_i32 s72, s72, -2
	s_cmp_lg_u32 s72, 0
	v_lshrrev_b32_e32 v7, 15, v7
	v_mul_u32_u24_e32 v9, 0xadc8, v7
	v_sub_u32_e32 v6, v6, v9
	v_mul_lo_u32 v6, v6, s74
	v_mul_u32_u24_e32 v7, 0xd47, v7
	v_xor_b32_e32 v9, 0x7fffffff, v7
	v_sub_u32_e32 v32, 0, v7
	v_cmp_lt_u32_e32 vcc, v6, v7
	v_cndmask_b32_e32 v7, v32, v9, vcc
	v_add_u32_e32 v6, v7, v6
	v_mul_hi_u32 v9, v6, s73
	v_add_u32_e32 v7, -1, v6
	v_cvt_f32_u32_e32 v7, v7
	v_lshrrev_b32_e32 v9, 15, v9
	v_mul_u32_u24_e32 v32, 0xadc8, v9
	v_sub_u32_e32 v6, v6, v32
	v_mul_lo_u32 v6, v6, s74
	v_mul_u32_u24_e32 v9, 0xd47, v9
	v_xor_b32_e32 v32, 0x7fffffff, v9
	v_sub_u32_e32 v33, 0, v9
	v_cmp_lt_u32_e32 vcc, v6, v9
	v_cndmask_b32_e32 v9, v33, v32, vcc
	v_add_u32_e32 v6, v9, v6
	v_mul_hi_u32 v32, v6, s73
	v_add_u32_e32 v9, -1, v6
	v_cvt_f32_u32_e32 v9, v9
	v_fma_f32 v7, v7, s75, 0
	v_lshrrev_b32_e32 v32, 15, v32
	v_mul_u32_u24_e32 v33, 0xadc8, v32
	v_fma_f32 v9, v9, s75, 0
	v_sub_u32_e32 v6, v6, v33
	v_mul_f32_e32 v9, v9, v9
	v_mul_lo_u32 v6, v6, s74
	v_fmac_f32_e32 v9, v7, v7
	v_mul_f32_e32 v7, 0x4f800000, v9
	v_cmp_gt_f32_e32 vcc, s76, v9
	v_mul_u32_u24_e32 v32, 0xd47, v32
	v_cndmask_b32_e32 v7, v9, v7, vcc
	v_xor_b32_e32 v33, 0x7fffffff, v32
	v_sub_u32_e32 v34, 0, v32
	v_sqrt_f32_e32 v9, v7
	v_cmp_lt_u32_e64 s[60:61], v6, v32
	v_cndmask_b32_e64 v32, v34, v33, s[60:61]
	v_add_u32_e32 v6, v32, v6
	v_mul_hi_u32 v33, v6, s73
	v_add_u32_e32 v34, -1, v9
	v_add_u32_e32 v35, 1, v9
	v_fma_f32 v36, -v34, v9, v7
	v_fma_f32 v37, -v35, v9, v7
	v_cmp_ge_f32_e64 s[60:61], 0, v36
	v_cndmask_b32_e64 v9, v9, v34, s[60:61]
	v_cmp_lt_f32_e64 s[60:61], 0, v37
	v_lshrrev_b32_e32 v33, 15, v33
	v_cndmask_b32_e64 v9, v9, v35, s[60:61]
	v_mul_u32_u24_e32 v35, 0xadc8, v33
	v_add_u32_e32 v32, -1, v6
	v_sub_u32_e32 v6, v6, v35
	v_mul_f32_e32 v34, 0x37800000, v9
	v_mul_lo_u32 v6, v6, s74
	v_cndmask_b32_e32 v9, v9, v34, vcc
	v_cmp_class_f32_e32 vcc, v7, v4
	v_cndmask_b32_e32 v7, v9, v7, vcc
	v_mul_u32_u24_e32 v33, 0xd47, v33
	v_cmp_nge_f32_e32 vcc, 1.0, v7
	v_xor_b32_e32 v34, 0x7fffffff, v33
	v_sub_u32_e32 v35, 0, v33
	v_cndmask_b32_e32 v5, v8, v5, vcc
	v_cmp_lt_u32_e32 vcc, v6, v33
	v_cndmask_b32_e32 v8, v35, v34, vcc
	v_add_u32_e32 v6, v8, v6
	v_add_u32_e32 v8, -1, v6
	v_cvt_f32_u32_e32 v8, v8
	v_cvt_f32_u32_e32 v32, v32
	v_add_f32_e32 v7, 1.0, v5
	v_fma_f32 v8, v8, s75, 0
	v_fma_f32 v32, v32, s75, 0
	v_mul_f32_e32 v8, v8, v8
	v_fmac_f32_e32 v8, v32, v32
	v_mul_f32_e32 v9, 0x4f800000, v8
	v_cmp_gt_f32_e32 vcc, s76, v8
	v_cndmask_b32_e32 v8, v8, v9, vcc
	v_sqrt_f32_e32 v9, v8
	v_add_u32_e32 v32, -1, v9
	v_add_u32_e32 v33, 1, v9
	v_fma_f32 v34, -v32, v9, v8
	v_fma_f32 v35, -v33, v9, v8
	v_cmp_ge_f32_e64 s[60:61], 0, v34
	v_cndmask_b32_e64 v9, v9, v32, s[60:61]
	v_cmp_lt_f32_e64 s[60:61], 0, v35
	v_cndmask_b32_e64 v9, v9, v33, s[60:61]
	v_mul_f32_e32 v32, 0x37800000, v9
	v_cndmask_b32_e32 v9, v9, v32, vcc
	v_cmp_class_f32_e32 vcc, v8, v4
	v_cndmask_b32_e32 v8, v9, v8, vcc
	v_cmp_nge_f32_e32 vcc, 1.0, v8
	v_cndmask_b32_e32 v5, v7, v5, vcc
	s_cbranch_scc1 .LBB31_1088
; %bb.1089:
	v_mul_f32_e32 v4, 4.0, v5
	s_mov_b32 s72, 0x459c4000
	v_div_scale_f32 v5, s[60:61], s72, s72, v4
	v_div_scale_f32 v6, vcc, v4, s72, v4
	v_rcp_f32_e32 v7, v5
	v_fma_f32 v8, -v5, v7, 1.0
	v_fmac_f32_e32 v7, v8, v7
	v_mul_f32_e32 v8, v6, v7
	v_fma_f32 v9, -v5, v8, v6
	v_fmac_f32_e32 v8, v9, v7
	v_fma_f32 v5, -v5, v8, v6
	v_div_fmas_f32 v5, v5, v7, v8
	v_div_fixup_f32 v32, v5, s72, v4
.LBB31_1090:
	s_or_b64 exec, exec, s[62:63]
	v_add_u32_e32 v4, 0x1300, v12
	v_cmp_lt_u32_e64 s[60:61], v4, v10
                                        ; implicit-def: $vgpr33
	s_and_saveexec_b64 s[72:73], s[60:61]
	s_cbranch_execz .LBB31_1100
; %bb.1091:
	v_add_u32_e32 v4, v13, v4
	s_movk_i32 s62, 0x1388
	v_mul_lo_u32 v4, v4, s62
	v_mov_b32_e32 v6, 1
	v_cmp_ne_u32_e32 vcc, 0, v4
	s_and_saveexec_b64 s[62:63], vcc
	s_cbranch_execz .LBB31_1097
; %bb.1092:
	v_mov_b32_e32 v5, 0
	v_mov_b32_e32 v8, 1
	;; [unrolled: 1-line block ×3, first 2 shown]
	s_mov_b64 s[76:77], 0xbc8f
	v_mov_b32_e32 v9, 0
	s_mov_b64 s[74:75], 0
	s_brev_b32 s88, -2
	v_mov_b32_e32 v6, v4
	s_branch .LBB31_1094
.LBB31_1093:                            ;   in Loop: Header=BB31_1094 Depth=1
	s_or_b64 exec, exec, s[78:79]
	s_mul_i32 s77, s76, s77
	s_mul_hi_u32 s78, s76, s76
	s_add_i32 s78, s78, s77
	s_add_i32 s78, s78, s77
	s_mul_i32 s79, s76, s76
	s_mul_i32 s77, s78, 3
	s_mul_hi_u32 s89, s79, 3
	s_mul_hi_u32 s76, s78, 3
	s_add_u32 s77, s77, s89
	s_addc_u32 s76, s76, 0
	s_mul_i32 s90, s79, 0x80000001
	s_mul_hi_u32 s89, s79, 0x80000001
	s_add_u32 s77, s90, s77
	s_addc_u32 s77, s89, 0
	s_add_u32 s76, s76, s77
	s_addc_u32 s77, 0, 0
	s_mul_i32 s90, s78, 0x80000001
	s_mul_hi_u32 s89, s78, 0x80000001
	s_add_u32 s76, s90, s76
	s_addc_u32 s77, s89, s77
	s_lshr_b32 s89, s77, 30
	s_lshr_b64 s[76:77], s[76:77], 30
	s_mul_i32 s89, s89, 0x7fffffff
	s_mul_hi_u32 s77, s76, 0x7fffffff
	v_lshrrev_b64 v[33:34], 1, v[6:7]
	s_add_i32 s77, s77, s89
	s_mul_i32 s76, s76, 0x7fffffff
	s_sub_u32 s76, s79, s76
	v_cmp_gt_u64_e32 vcc, 2, v[6:7]
	s_subb_u32 s77, s78, s77
	v_mov_b32_e32 v6, v33
	s_or_b64 s[74:75], vcc, s[74:75]
	v_mov_b32_e32 v7, v34
	s_andn2_b64 exec, exec, s[74:75]
	s_cbranch_execz .LBB31_1096
.LBB31_1094:                            ; =>This Inner Loop Header: Depth=1
	v_and_b32_e32 v4, 1, v6
	v_cmp_eq_u32_e32 vcc, 1, v4
	s_and_saveexec_b64 s[78:79], vcc
	s_cbranch_execz .LBB31_1093
; %bb.1095:                             ;   in Loop: Header=BB31_1094 Depth=1
	v_mad_u64_u32 v[33:34], s[90:91], s76, v8, 0
	v_mul_lo_u32 v8, s77, v8
	v_mul_lo_u32 v9, s76, v9
	v_mul_hi_u32 v4, v33, 5
	v_add3_u32 v36, v34, v9, v8
	v_mad_u64_u32 v[8:9], s[90:91], v36, 5, v[4:5]
	v_mov_b32_e32 v4, v8
	v_mad_u64_u32 v[34:35], s[90:91], v33, 2, v[4:5]
	v_add_co_u32_e32 v8, vcc, v9, v35
	v_addc_co_u32_e64 v9, s[90:91], 0, 0, vcc
	v_mad_u64_u32 v[8:9], s[90:91], v36, 2, v[8:9]
	v_sub_co_u32_e32 v34, vcc, v33, v8
	v_subb_co_u32_e32 v35, vcc, v36, v9, vcc
	v_lshrrev_b64 v[34:35], 1, v[34:35]
	v_add_co_u32_e32 v4, vcc, v34, v8
	v_addc_co_u32_e32 v34, vcc, v35, v9, vcc
	v_alignbit_b32 v4, v34, v4, 30
	v_mad_u64_u32 v[8:9], s[90:91], v4, s88, 0
	v_lshrrev_b32_e32 v34, 30, v34
	v_mov_b32_e32 v4, v9
	v_mad_u64_u32 v[34:35], s[90:91], v34, s88, v[4:5]
	v_sub_co_u32_e32 v8, vcc, v33, v8
	v_subb_co_u32_e32 v9, vcc, v36, v34, vcc
	s_branch .LBB31_1093
.LBB31_1096:
	s_or_b64 exec, exec, s[74:75]
	v_add_u32_e32 v4, 0x80000001, v8
	v_min_u32_e32 v4, v4, v8
	v_add_u32_e32 v5, 0x80000001, v4
	v_min_u32_e32 v6, v5, v4
.LBB31_1097:
	s_or_b64 exec, exec, s[62:63]
	v_mov_b32_e32 v5, 0
	s_movk_i32 s74, 0x1388
	s_mov_b32 s75, 0xbc8f1391
	s_mov_b32 s76, 0xbc8f
	s_brev_b32 s77, 12
	s_mov_b32 s78, 0xf800000
	v_mov_b32_e32 v4, 0x260
.LBB31_1098:                            ; =>This Inner Loop Header: Depth=1
	v_mul_hi_u32 v7, v6, s75
	v_add_f32_e32 v8, 1.0, v5
	s_add_i32 s74, s74, -2
	s_cmp_lg_u32 s74, 0
	v_lshrrev_b32_e32 v7, 15, v7
	v_mul_u32_u24_e32 v9, 0xadc8, v7
	v_sub_u32_e32 v6, v6, v9
	v_mul_lo_u32 v6, v6, s76
	v_mul_u32_u24_e32 v7, 0xd47, v7
	v_xor_b32_e32 v9, 0x7fffffff, v7
	v_sub_u32_e32 v33, 0, v7
	v_cmp_lt_u32_e32 vcc, v6, v7
	v_cndmask_b32_e32 v7, v33, v9, vcc
	v_add_u32_e32 v6, v7, v6
	v_mul_hi_u32 v9, v6, s75
	v_add_u32_e32 v7, -1, v6
	v_cvt_f32_u32_e32 v7, v7
	v_lshrrev_b32_e32 v9, 15, v9
	v_mul_u32_u24_e32 v33, 0xadc8, v9
	v_sub_u32_e32 v6, v6, v33
	v_mul_lo_u32 v6, v6, s76
	v_mul_u32_u24_e32 v9, 0xd47, v9
	v_xor_b32_e32 v33, 0x7fffffff, v9
	v_sub_u32_e32 v34, 0, v9
	v_cmp_lt_u32_e32 vcc, v6, v9
	v_cndmask_b32_e32 v9, v34, v33, vcc
	v_add_u32_e32 v6, v9, v6
	v_mul_hi_u32 v33, v6, s75
	v_add_u32_e32 v9, -1, v6
	v_cvt_f32_u32_e32 v9, v9
	v_fma_f32 v7, v7, s77, 0
	v_lshrrev_b32_e32 v33, 15, v33
	v_mul_u32_u24_e32 v34, 0xadc8, v33
	v_fma_f32 v9, v9, s77, 0
	v_sub_u32_e32 v6, v6, v34
	v_mul_f32_e32 v9, v9, v9
	v_mul_lo_u32 v6, v6, s76
	v_fmac_f32_e32 v9, v7, v7
	v_mul_f32_e32 v7, 0x4f800000, v9
	v_cmp_gt_f32_e32 vcc, s78, v9
	v_mul_u32_u24_e32 v33, 0xd47, v33
	v_cndmask_b32_e32 v7, v9, v7, vcc
	v_xor_b32_e32 v34, 0x7fffffff, v33
	v_sub_u32_e32 v35, 0, v33
	v_sqrt_f32_e32 v9, v7
	v_cmp_lt_u32_e64 s[62:63], v6, v33
	v_cndmask_b32_e64 v33, v35, v34, s[62:63]
	v_add_u32_e32 v6, v33, v6
	v_mul_hi_u32 v34, v6, s75
	v_add_u32_e32 v35, -1, v9
	v_add_u32_e32 v36, 1, v9
	v_fma_f32 v37, -v35, v9, v7
	v_fma_f32 v38, -v36, v9, v7
	v_cmp_ge_f32_e64 s[62:63], 0, v37
	v_cndmask_b32_e64 v9, v9, v35, s[62:63]
	v_cmp_lt_f32_e64 s[62:63], 0, v38
	v_lshrrev_b32_e32 v34, 15, v34
	v_cndmask_b32_e64 v9, v9, v36, s[62:63]
	v_mul_u32_u24_e32 v36, 0xadc8, v34
	v_add_u32_e32 v33, -1, v6
	v_sub_u32_e32 v6, v6, v36
	v_mul_f32_e32 v35, 0x37800000, v9
	v_mul_lo_u32 v6, v6, s76
	v_cndmask_b32_e32 v9, v9, v35, vcc
	v_cmp_class_f32_e32 vcc, v7, v4
	v_cndmask_b32_e32 v7, v9, v7, vcc
	v_mul_u32_u24_e32 v34, 0xd47, v34
	v_cmp_nge_f32_e32 vcc, 1.0, v7
	v_xor_b32_e32 v35, 0x7fffffff, v34
	v_sub_u32_e32 v36, 0, v34
	v_cndmask_b32_e32 v5, v8, v5, vcc
	v_cmp_lt_u32_e32 vcc, v6, v34
	v_cndmask_b32_e32 v8, v36, v35, vcc
	v_add_u32_e32 v6, v8, v6
	v_add_u32_e32 v8, -1, v6
	v_cvt_f32_u32_e32 v8, v8
	v_cvt_f32_u32_e32 v33, v33
	v_add_f32_e32 v7, 1.0, v5
	v_fma_f32 v8, v8, s77, 0
	v_fma_f32 v33, v33, s77, 0
	v_mul_f32_e32 v8, v8, v8
	v_fmac_f32_e32 v8, v33, v33
	v_mul_f32_e32 v9, 0x4f800000, v8
	v_cmp_gt_f32_e32 vcc, s78, v8
	v_cndmask_b32_e32 v8, v8, v9, vcc
	v_sqrt_f32_e32 v9, v8
	v_add_u32_e32 v33, -1, v9
	v_add_u32_e32 v34, 1, v9
	v_fma_f32 v35, -v33, v9, v8
	v_fma_f32 v36, -v34, v9, v8
	v_cmp_ge_f32_e64 s[62:63], 0, v35
	v_cndmask_b32_e64 v9, v9, v33, s[62:63]
	v_cmp_lt_f32_e64 s[62:63], 0, v36
	v_cndmask_b32_e64 v9, v9, v34, s[62:63]
	v_mul_f32_e32 v33, 0x37800000, v9
	v_cndmask_b32_e32 v9, v9, v33, vcc
	v_cmp_class_f32_e32 vcc, v8, v4
	v_cndmask_b32_e32 v8, v9, v8, vcc
	v_cmp_nge_f32_e32 vcc, 1.0, v8
	v_cndmask_b32_e32 v5, v7, v5, vcc
	s_cbranch_scc1 .LBB31_1098
; %bb.1099:
	v_mul_f32_e32 v4, 4.0, v5
	s_mov_b32 s74, 0x459c4000
	v_div_scale_f32 v5, s[62:63], s74, s74, v4
	v_div_scale_f32 v6, vcc, v4, s74, v4
	v_rcp_f32_e32 v7, v5
	v_fma_f32 v8, -v5, v7, 1.0
	v_fmac_f32_e32 v7, v8, v7
	v_mul_f32_e32 v8, v6, v7
	v_fma_f32 v9, -v5, v8, v6
	v_fmac_f32_e32 v8, v9, v7
	v_fma_f32 v5, -v5, v8, v6
	v_div_fmas_f32 v5, v5, v7, v8
	v_div_fixup_f32 v33, v5, s74, v4
.LBB31_1100:
	s_or_b64 exec, exec, s[72:73]
	v_or_b32_e32 v4, 0x1400, v12
	v_cmp_lt_u32_e64 s[62:63], v4, v10
                                        ; implicit-def: $vgpr34
	s_and_saveexec_b64 s[74:75], s[62:63]
	s_cbranch_execz .LBB31_1110
; %bb.1101:
	v_add_u32_e32 v4, v13, v4
	s_movk_i32 s72, 0x1388
	v_mul_lo_u32 v4, v4, s72
	v_mov_b32_e32 v6, 1
	v_cmp_ne_u32_e32 vcc, 0, v4
	s_and_saveexec_b64 s[72:73], vcc
	s_cbranch_execz .LBB31_1107
; %bb.1102:
	v_mov_b32_e32 v5, 0
	v_mov_b32_e32 v8, 1
	;; [unrolled: 1-line block ×3, first 2 shown]
	s_mov_b64 s[78:79], 0xbc8f
	v_mov_b32_e32 v9, 0
	s_mov_b64 s[76:77], 0
	s_brev_b32 s90, -2
	v_mov_b32_e32 v6, v4
	s_branch .LBB31_1104
.LBB31_1103:                            ;   in Loop: Header=BB31_1104 Depth=1
	s_or_b64 exec, exec, s[88:89]
	s_mul_i32 s79, s78, s79
	s_mul_hi_u32 s88, s78, s78
	s_add_i32 s88, s88, s79
	s_add_i32 s88, s88, s79
	s_mul_i32 s89, s78, s78
	s_mul_i32 s79, s88, 3
	s_mul_hi_u32 s91, s89, 3
	s_mul_hi_u32 s78, s88, 3
	s_add_u32 s79, s79, s91
	s_addc_u32 s78, s78, 0
	s_mul_i32 s92, s89, 0x80000001
	s_mul_hi_u32 s91, s89, 0x80000001
	s_add_u32 s79, s92, s79
	s_addc_u32 s79, s91, 0
	s_add_u32 s78, s78, s79
	s_addc_u32 s79, 0, 0
	s_mul_i32 s92, s88, 0x80000001
	s_mul_hi_u32 s91, s88, 0x80000001
	s_add_u32 s78, s92, s78
	s_addc_u32 s79, s91, s79
	s_lshr_b32 s91, s79, 30
	s_lshr_b64 s[78:79], s[78:79], 30
	s_mul_i32 s91, s91, 0x7fffffff
	s_mul_hi_u32 s79, s78, 0x7fffffff
	v_lshrrev_b64 v[34:35], 1, v[6:7]
	s_add_i32 s79, s79, s91
	s_mul_i32 s78, s78, 0x7fffffff
	s_sub_u32 s78, s89, s78
	v_cmp_gt_u64_e32 vcc, 2, v[6:7]
	s_subb_u32 s79, s88, s79
	v_mov_b32_e32 v6, v34
	s_or_b64 s[76:77], vcc, s[76:77]
	v_mov_b32_e32 v7, v35
	s_andn2_b64 exec, exec, s[76:77]
	s_cbranch_execz .LBB31_1106
.LBB31_1104:                            ; =>This Inner Loop Header: Depth=1
	v_and_b32_e32 v4, 1, v6
	v_cmp_eq_u32_e32 vcc, 1, v4
	s_and_saveexec_b64 s[88:89], vcc
	s_cbranch_execz .LBB31_1103
; %bb.1105:                             ;   in Loop: Header=BB31_1104 Depth=1
	v_mad_u64_u32 v[34:35], s[92:93], s78, v8, 0
	v_mul_lo_u32 v8, s79, v8
	v_mul_lo_u32 v9, s78, v9
	v_mul_hi_u32 v4, v34, 5
	v_add3_u32 v37, v35, v9, v8
	v_mad_u64_u32 v[8:9], s[92:93], v37, 5, v[4:5]
	v_mov_b32_e32 v4, v8
	v_mad_u64_u32 v[35:36], s[92:93], v34, 2, v[4:5]
	v_add_co_u32_e32 v8, vcc, v9, v36
	v_addc_co_u32_e64 v9, s[92:93], 0, 0, vcc
	v_mad_u64_u32 v[8:9], s[92:93], v37, 2, v[8:9]
	v_sub_co_u32_e32 v35, vcc, v34, v8
	v_subb_co_u32_e32 v36, vcc, v37, v9, vcc
	v_lshrrev_b64 v[35:36], 1, v[35:36]
	v_add_co_u32_e32 v4, vcc, v35, v8
	v_addc_co_u32_e32 v35, vcc, v36, v9, vcc
	v_alignbit_b32 v4, v35, v4, 30
	v_mad_u64_u32 v[8:9], s[92:93], v4, s90, 0
	v_lshrrev_b32_e32 v35, 30, v35
	v_mov_b32_e32 v4, v9
	v_mad_u64_u32 v[35:36], s[92:93], v35, s90, v[4:5]
	v_sub_co_u32_e32 v8, vcc, v34, v8
	v_subb_co_u32_e32 v9, vcc, v37, v35, vcc
	s_branch .LBB31_1103
.LBB31_1106:
	s_or_b64 exec, exec, s[76:77]
	v_add_u32_e32 v4, 0x80000001, v8
	v_min_u32_e32 v4, v4, v8
	v_add_u32_e32 v5, 0x80000001, v4
	v_min_u32_e32 v6, v5, v4
.LBB31_1107:
	s_or_b64 exec, exec, s[72:73]
	v_mov_b32_e32 v5, 0
	s_movk_i32 s76, 0x1388
	s_mov_b32 s77, 0xbc8f1391
	s_mov_b32 s78, 0xbc8f
	s_brev_b32 s79, 12
	s_mov_b32 s88, 0xf800000
	v_mov_b32_e32 v4, 0x260
.LBB31_1108:                            ; =>This Inner Loop Header: Depth=1
	v_mul_hi_u32 v7, v6, s77
	v_add_f32_e32 v8, 1.0, v5
	s_add_i32 s76, s76, -2
	s_cmp_lg_u32 s76, 0
	v_lshrrev_b32_e32 v7, 15, v7
	v_mul_u32_u24_e32 v9, 0xadc8, v7
	v_sub_u32_e32 v6, v6, v9
	v_mul_lo_u32 v6, v6, s78
	v_mul_u32_u24_e32 v7, 0xd47, v7
	v_xor_b32_e32 v9, 0x7fffffff, v7
	v_sub_u32_e32 v34, 0, v7
	v_cmp_lt_u32_e32 vcc, v6, v7
	v_cndmask_b32_e32 v7, v34, v9, vcc
	v_add_u32_e32 v6, v7, v6
	v_mul_hi_u32 v9, v6, s77
	v_add_u32_e32 v7, -1, v6
	v_cvt_f32_u32_e32 v7, v7
	v_lshrrev_b32_e32 v9, 15, v9
	v_mul_u32_u24_e32 v34, 0xadc8, v9
	v_sub_u32_e32 v6, v6, v34
	v_mul_lo_u32 v6, v6, s78
	v_mul_u32_u24_e32 v9, 0xd47, v9
	v_xor_b32_e32 v34, 0x7fffffff, v9
	v_sub_u32_e32 v35, 0, v9
	v_cmp_lt_u32_e32 vcc, v6, v9
	v_cndmask_b32_e32 v9, v35, v34, vcc
	v_add_u32_e32 v6, v9, v6
	v_mul_hi_u32 v34, v6, s77
	v_add_u32_e32 v9, -1, v6
	v_cvt_f32_u32_e32 v9, v9
	v_fma_f32 v7, v7, s79, 0
	v_lshrrev_b32_e32 v34, 15, v34
	v_mul_u32_u24_e32 v35, 0xadc8, v34
	v_fma_f32 v9, v9, s79, 0
	v_sub_u32_e32 v6, v6, v35
	v_mul_f32_e32 v9, v9, v9
	v_mul_lo_u32 v6, v6, s78
	v_fmac_f32_e32 v9, v7, v7
	v_mul_f32_e32 v7, 0x4f800000, v9
	v_cmp_gt_f32_e32 vcc, s88, v9
	v_mul_u32_u24_e32 v34, 0xd47, v34
	v_cndmask_b32_e32 v7, v9, v7, vcc
	v_xor_b32_e32 v35, 0x7fffffff, v34
	v_sub_u32_e32 v36, 0, v34
	v_sqrt_f32_e32 v9, v7
	v_cmp_lt_u32_e64 s[72:73], v6, v34
	v_cndmask_b32_e64 v34, v36, v35, s[72:73]
	v_add_u32_e32 v6, v34, v6
	v_mul_hi_u32 v35, v6, s77
	v_add_u32_e32 v36, -1, v9
	v_add_u32_e32 v37, 1, v9
	v_fma_f32 v38, -v36, v9, v7
	v_fma_f32 v39, -v37, v9, v7
	v_cmp_ge_f32_e64 s[72:73], 0, v38
	v_cndmask_b32_e64 v9, v9, v36, s[72:73]
	v_cmp_lt_f32_e64 s[72:73], 0, v39
	v_lshrrev_b32_e32 v35, 15, v35
	v_cndmask_b32_e64 v9, v9, v37, s[72:73]
	v_mul_u32_u24_e32 v37, 0xadc8, v35
	v_add_u32_e32 v34, -1, v6
	v_sub_u32_e32 v6, v6, v37
	v_mul_f32_e32 v36, 0x37800000, v9
	v_mul_lo_u32 v6, v6, s78
	v_cndmask_b32_e32 v9, v9, v36, vcc
	v_cmp_class_f32_e32 vcc, v7, v4
	v_cndmask_b32_e32 v7, v9, v7, vcc
	v_mul_u32_u24_e32 v35, 0xd47, v35
	v_cmp_nge_f32_e32 vcc, 1.0, v7
	v_xor_b32_e32 v36, 0x7fffffff, v35
	v_sub_u32_e32 v37, 0, v35
	v_cndmask_b32_e32 v5, v8, v5, vcc
	v_cmp_lt_u32_e32 vcc, v6, v35
	v_cndmask_b32_e32 v8, v37, v36, vcc
	v_add_u32_e32 v6, v8, v6
	v_add_u32_e32 v8, -1, v6
	v_cvt_f32_u32_e32 v8, v8
	v_cvt_f32_u32_e32 v34, v34
	v_add_f32_e32 v7, 1.0, v5
	v_fma_f32 v8, v8, s79, 0
	v_fma_f32 v34, v34, s79, 0
	v_mul_f32_e32 v8, v8, v8
	v_fmac_f32_e32 v8, v34, v34
	v_mul_f32_e32 v9, 0x4f800000, v8
	v_cmp_gt_f32_e32 vcc, s88, v8
	v_cndmask_b32_e32 v8, v8, v9, vcc
	v_sqrt_f32_e32 v9, v8
	v_add_u32_e32 v34, -1, v9
	v_add_u32_e32 v35, 1, v9
	v_fma_f32 v36, -v34, v9, v8
	v_fma_f32 v37, -v35, v9, v8
	v_cmp_ge_f32_e64 s[72:73], 0, v36
	v_cndmask_b32_e64 v9, v9, v34, s[72:73]
	v_cmp_lt_f32_e64 s[72:73], 0, v37
	v_cndmask_b32_e64 v9, v9, v35, s[72:73]
	v_mul_f32_e32 v34, 0x37800000, v9
	v_cndmask_b32_e32 v9, v9, v34, vcc
	v_cmp_class_f32_e32 vcc, v8, v4
	v_cndmask_b32_e32 v8, v9, v8, vcc
	v_cmp_nge_f32_e32 vcc, 1.0, v8
	v_cndmask_b32_e32 v5, v7, v5, vcc
	s_cbranch_scc1 .LBB31_1108
; %bb.1109:
	v_mul_f32_e32 v4, 4.0, v5
	s_mov_b32 s76, 0x459c4000
	v_div_scale_f32 v5, s[72:73], s76, s76, v4
	v_div_scale_f32 v6, vcc, v4, s76, v4
	v_rcp_f32_e32 v7, v5
	v_fma_f32 v8, -v5, v7, 1.0
	v_fmac_f32_e32 v7, v8, v7
	v_mul_f32_e32 v8, v6, v7
	v_fma_f32 v9, -v5, v8, v6
	v_fmac_f32_e32 v8, v9, v7
	v_fma_f32 v5, -v5, v8, v6
	v_div_fmas_f32 v5, v5, v7, v8
	v_div_fixup_f32 v34, v5, s76, v4
.LBB31_1110:
	s_or_b64 exec, exec, s[74:75]
	v_add_u32_e32 v4, 0x1500, v12
	v_cmp_lt_u32_e64 s[72:73], v4, v10
                                        ; implicit-def: $vgpr35
	s_and_saveexec_b64 s[76:77], s[72:73]
	s_cbranch_execz .LBB31_1120
; %bb.1111:
	v_add_u32_e32 v4, v13, v4
	s_movk_i32 s74, 0x1388
	v_mul_lo_u32 v4, v4, s74
	v_mov_b32_e32 v6, 1
	v_cmp_ne_u32_e32 vcc, 0, v4
	s_and_saveexec_b64 s[74:75], vcc
	s_cbranch_execz .LBB31_1117
; %bb.1112:
	v_mov_b32_e32 v5, 0
	v_mov_b32_e32 v8, 1
	;; [unrolled: 1-line block ×3, first 2 shown]
	s_mov_b64 s[88:89], 0xbc8f
	v_mov_b32_e32 v9, 0
	s_mov_b64 s[78:79], 0
	s_brev_b32 s92, -2
	v_mov_b32_e32 v6, v4
	s_branch .LBB31_1114
.LBB31_1113:                            ;   in Loop: Header=BB31_1114 Depth=1
	s_or_b64 exec, exec, s[90:91]
	s_mul_i32 s89, s88, s89
	s_mul_hi_u32 s90, s88, s88
	s_add_i32 s90, s90, s89
	s_add_i32 s90, s90, s89
	s_mul_i32 s91, s88, s88
	s_mul_i32 s89, s90, 3
	s_mul_hi_u32 s93, s91, 3
	s_mul_hi_u32 s88, s90, 3
	s_add_u32 s89, s89, s93
	s_addc_u32 s88, s88, 0
	s_mul_i32 s94, s91, 0x80000001
	s_mul_hi_u32 s93, s91, 0x80000001
	s_add_u32 s89, s94, s89
	s_addc_u32 s89, s93, 0
	s_add_u32 s88, s88, s89
	s_addc_u32 s89, 0, 0
	s_mul_i32 s94, s90, 0x80000001
	s_mul_hi_u32 s93, s90, 0x80000001
	s_add_u32 s88, s94, s88
	s_addc_u32 s89, s93, s89
	s_lshr_b32 s93, s89, 30
	s_lshr_b64 s[88:89], s[88:89], 30
	s_mul_i32 s93, s93, 0x7fffffff
	s_mul_hi_u32 s89, s88, 0x7fffffff
	v_lshrrev_b64 v[35:36], 1, v[6:7]
	s_add_i32 s89, s89, s93
	s_mul_i32 s88, s88, 0x7fffffff
	s_sub_u32 s88, s91, s88
	v_cmp_gt_u64_e32 vcc, 2, v[6:7]
	s_subb_u32 s89, s90, s89
	v_mov_b32_e32 v6, v35
	s_or_b64 s[78:79], vcc, s[78:79]
	v_mov_b32_e32 v7, v36
	s_andn2_b64 exec, exec, s[78:79]
	s_cbranch_execz .LBB31_1116
.LBB31_1114:                            ; =>This Inner Loop Header: Depth=1
	v_and_b32_e32 v4, 1, v6
	v_cmp_eq_u32_e32 vcc, 1, v4
	s_and_saveexec_b64 s[90:91], vcc
	s_cbranch_execz .LBB31_1113
; %bb.1115:                             ;   in Loop: Header=BB31_1114 Depth=1
	v_mad_u64_u32 v[35:36], s[94:95], s88, v8, 0
	v_mul_lo_u32 v8, s89, v8
	v_mul_lo_u32 v9, s88, v9
	v_mul_hi_u32 v4, v35, 5
	v_add3_u32 v38, v36, v9, v8
	v_mad_u64_u32 v[8:9], s[94:95], v38, 5, v[4:5]
	v_mov_b32_e32 v4, v8
	v_mad_u64_u32 v[36:37], s[94:95], v35, 2, v[4:5]
	v_add_co_u32_e32 v8, vcc, v9, v37
	v_addc_co_u32_e64 v9, s[94:95], 0, 0, vcc
	v_mad_u64_u32 v[8:9], s[94:95], v38, 2, v[8:9]
	v_sub_co_u32_e32 v36, vcc, v35, v8
	v_subb_co_u32_e32 v37, vcc, v38, v9, vcc
	v_lshrrev_b64 v[36:37], 1, v[36:37]
	v_add_co_u32_e32 v4, vcc, v36, v8
	v_addc_co_u32_e32 v36, vcc, v37, v9, vcc
	v_alignbit_b32 v4, v36, v4, 30
	v_mad_u64_u32 v[8:9], s[94:95], v4, s92, 0
	v_lshrrev_b32_e32 v36, 30, v36
	v_mov_b32_e32 v4, v9
	v_mad_u64_u32 v[36:37], s[94:95], v36, s92, v[4:5]
	v_sub_co_u32_e32 v8, vcc, v35, v8
	v_subb_co_u32_e32 v9, vcc, v38, v36, vcc
	s_branch .LBB31_1113
.LBB31_1116:
	s_or_b64 exec, exec, s[78:79]
	v_add_u32_e32 v4, 0x80000001, v8
	v_min_u32_e32 v4, v4, v8
	v_add_u32_e32 v5, 0x80000001, v4
	v_min_u32_e32 v6, v5, v4
.LBB31_1117:
	s_or_b64 exec, exec, s[74:75]
	v_mov_b32_e32 v5, 0
	s_movk_i32 s78, 0x1388
	s_mov_b32 s79, 0xbc8f1391
	s_mov_b32 s88, 0xbc8f
	s_brev_b32 s89, 12
	s_mov_b32 s90, 0xf800000
	v_mov_b32_e32 v4, 0x260
.LBB31_1118:                            ; =>This Inner Loop Header: Depth=1
	v_mul_hi_u32 v7, v6, s79
	s_add_i32 s78, s78, -2
	s_cmp_lg_u32 s78, 0
	v_lshrrev_b32_e32 v7, 15, v7
	v_mul_u32_u24_e32 v8, 0xadc8, v7
	v_sub_u32_e32 v6, v6, v8
	v_mul_lo_u32 v6, v6, s88
	v_mul_u32_u24_e32 v7, 0xd47, v7
	v_xor_b32_e32 v8, 0x7fffffff, v7
	v_cmp_lt_u32_e32 vcc, v6, v7
	v_sub_u32_e32 v7, 0, v7
	v_cndmask_b32_e32 v7, v7, v8, vcc
	v_add_u32_e32 v6, v7, v6
	v_mul_hi_u32 v8, v6, s79
	v_add_u32_e32 v7, -1, v6
	v_cvt_f32_u32_e32 v7, v7
	v_lshrrev_b32_e32 v8, 15, v8
	v_mul_u32_u24_e32 v9, 0xadc8, v8
	v_sub_u32_e32 v6, v6, v9
	v_mul_lo_u32 v6, v6, s88
	v_mul_u32_u24_e32 v8, 0xd47, v8
	v_xor_b32_e32 v9, 0x7fffffff, v8
	v_fma_f32 v7, v7, s89, 0
	v_cmp_lt_u32_e32 vcc, v6, v8
	v_sub_u32_e32 v8, 0, v8
	v_cndmask_b32_e32 v8, v8, v9, vcc
	v_add_u32_e32 v6, v8, v6
	v_add_u32_e32 v8, -1, v6
	v_cvt_f32_u32_e32 v8, v8
	v_fma_f32 v8, v8, s89, 0
	v_mul_f32_e32 v8, v8, v8
	v_fmac_f32_e32 v8, v7, v7
	v_cmp_gt_f32_e32 vcc, s90, v8
	v_mul_f32_e32 v7, 0x4f800000, v8
	v_cndmask_b32_e32 v7, v8, v7, vcc
	v_sqrt_f32_e32 v8, v7
	v_add_u32_e32 v9, -1, v8
	v_fma_f32 v35, -v9, v8, v7
	v_cmp_ge_f32_e64 s[74:75], 0, v35
	v_add_u32_e32 v35, 1, v8
	v_cndmask_b32_e64 v9, v8, v9, s[74:75]
	v_fma_f32 v8, -v35, v8, v7
	v_cmp_lt_f32_e64 s[74:75], 0, v8
	v_cndmask_b32_e64 v8, v9, v35, s[74:75]
	v_mul_f32_e32 v9, 0x37800000, v8
	v_cndmask_b32_e32 v8, v8, v9, vcc
	v_cmp_class_f32_e32 vcc, v7, v4
	v_cndmask_b32_e32 v7, v8, v7, vcc
	v_cmp_nge_f32_e32 vcc, 1.0, v7
	v_add_f32_e32 v7, 1.0, v5
	v_cndmask_b32_e32 v5, v7, v5, vcc
	v_mul_hi_u32 v7, v6, s79
	v_lshrrev_b32_e32 v7, 15, v7
	v_mul_u32_u24_e32 v8, 0xadc8, v7
	v_sub_u32_e32 v6, v6, v8
	v_mul_lo_u32 v6, v6, s88
	v_mul_u32_u24_e32 v7, 0xd47, v7
	v_xor_b32_e32 v8, 0x7fffffff, v7
	v_cmp_lt_u32_e32 vcc, v6, v7
	v_sub_u32_e32 v7, 0, v7
	v_cndmask_b32_e32 v7, v7, v8, vcc
	v_add_u32_e32 v6, v7, v6
	v_mul_hi_u32 v8, v6, s79
	v_add_u32_e32 v7, -1, v6
	v_cvt_f32_u32_e32 v7, v7
	v_lshrrev_b32_e32 v8, 15, v8
	v_mul_u32_u24_e32 v9, 0xadc8, v8
	v_sub_u32_e32 v6, v6, v9
	v_mul_lo_u32 v6, v6, s88
	v_mul_u32_u24_e32 v8, 0xd47, v8
	v_xor_b32_e32 v9, 0x7fffffff, v8
	v_fma_f32 v7, v7, s89, 0
	v_cmp_lt_u32_e32 vcc, v6, v8
	v_sub_u32_e32 v8, 0, v8
	v_cndmask_b32_e32 v8, v8, v9, vcc
	v_add_u32_e32 v6, v8, v6
	v_add_u32_e32 v8, -1, v6
	v_cvt_f32_u32_e32 v8, v8
	v_fma_f32 v8, v8, s89, 0
	v_mul_f32_e32 v8, v8, v8
	v_fmac_f32_e32 v8, v7, v7
	v_cmp_gt_f32_e32 vcc, s90, v8
	v_mul_f32_e32 v7, 0x4f800000, v8
	v_cndmask_b32_e32 v7, v8, v7, vcc
	v_sqrt_f32_e32 v8, v7
	v_add_u32_e32 v9, -1, v8
	v_fma_f32 v35, -v9, v8, v7
	v_cmp_ge_f32_e64 s[74:75], 0, v35
	v_add_u32_e32 v35, 1, v8
	v_cndmask_b32_e64 v9, v8, v9, s[74:75]
	v_fma_f32 v8, -v35, v8, v7
	v_cmp_lt_f32_e64 s[74:75], 0, v8
	v_cndmask_b32_e64 v8, v9, v35, s[74:75]
	v_mul_f32_e32 v9, 0x37800000, v8
	v_cndmask_b32_e32 v8, v8, v9, vcc
	v_cmp_class_f32_e32 vcc, v7, v4
	v_cndmask_b32_e32 v7, v8, v7, vcc
	v_cmp_nge_f32_e32 vcc, 1.0, v7
	v_add_f32_e32 v7, 1.0, v5
	v_cndmask_b32_e32 v5, v7, v5, vcc
	s_cbranch_scc1 .LBB31_1118
; %bb.1119:
	v_mul_f32_e32 v4, 4.0, v5
	s_mov_b32 s78, 0x459c4000
	v_div_scale_f32 v5, s[74:75], s78, s78, v4
	v_div_scale_f32 v6, vcc, v4, s78, v4
	v_rcp_f32_e32 v7, v5
	v_fma_f32 v8, -v5, v7, 1.0
	v_fmac_f32_e32 v7, v8, v7
	v_mul_f32_e32 v8, v6, v7
	v_fma_f32 v9, -v5, v8, v6
	v_fmac_f32_e32 v8, v9, v7
	v_fma_f32 v5, -v5, v8, v6
	v_div_fmas_f32 v5, v5, v7, v8
	v_div_fixup_f32 v35, v5, s78, v4
.LBB31_1120:
	s_or_b64 exec, exec, s[76:77]
	v_add_u32_e32 v4, 0x1600, v12
	v_cmp_lt_u32_e64 s[74:75], v4, v10
                                        ; implicit-def: $vgpr36
	s_and_saveexec_b64 s[78:79], s[74:75]
	s_cbranch_execz .LBB31_1130
; %bb.1121:
	v_add_u32_e32 v4, v13, v4
	s_movk_i32 s76, 0x1388
	v_mul_lo_u32 v4, v4, s76
	v_mov_b32_e32 v6, 1
	v_cmp_ne_u32_e32 vcc, 0, v4
	s_and_saveexec_b64 s[76:77], vcc
	s_cbranch_execz .LBB31_1127
; %bb.1122:
	v_mov_b32_e32 v5, 0
	v_mov_b32_e32 v8, 1
	;; [unrolled: 1-line block ×3, first 2 shown]
	s_mov_b64 s[90:91], 0xbc8f
	v_mov_b32_e32 v9, 0
	s_mov_b64 s[88:89], 0
	s_brev_b32 s94, -2
	v_mov_b32_e32 v6, v4
	s_branch .LBB31_1124
.LBB31_1123:                            ;   in Loop: Header=BB31_1124 Depth=1
	s_or_b64 exec, exec, s[92:93]
	s_mul_i32 s91, s90, s91
	s_mul_hi_u32 s92, s90, s90
	s_add_i32 s92, s92, s91
	s_add_i32 s92, s92, s91
	s_mul_i32 s93, s90, s90
	s_mul_i32 s91, s92, 3
	s_mul_hi_u32 s95, s93, 3
	s_mul_hi_u32 s90, s92, 3
	s_add_u32 s91, s91, s95
	s_addc_u32 s90, s90, 0
	s_mul_i32 vcc_lo, s93, 0x80000001
	s_mul_hi_u32 s95, s93, 0x80000001
	s_add_u32 s91, vcc_lo, s91
	s_addc_u32 s91, s95, 0
	s_add_u32 s90, s90, s91
	s_addc_u32 s91, 0, 0
	s_mul_i32 vcc_lo, s92, 0x80000001
	s_mul_hi_u32 s95, s92, 0x80000001
	s_add_u32 s90, vcc_lo, s90
	s_addc_u32 s91, s95, s91
	s_lshr_b32 s95, s91, 30
	s_lshr_b64 s[90:91], s[90:91], 30
	s_mul_i32 s95, s95, 0x7fffffff
	s_mul_hi_u32 s91, s90, 0x7fffffff
	v_lshrrev_b64 v[36:37], 1, v[6:7]
	s_add_i32 s91, s91, s95
	s_mul_i32 s90, s90, 0x7fffffff
	s_sub_u32 s90, s93, s90
	v_cmp_gt_u64_e32 vcc, 2, v[6:7]
	s_subb_u32 s91, s92, s91
	v_mov_b32_e32 v6, v36
	s_or_b64 s[88:89], vcc, s[88:89]
	v_mov_b32_e32 v7, v37
	s_andn2_b64 exec, exec, s[88:89]
	s_cbranch_execz .LBB31_1126
.LBB31_1124:                            ; =>This Inner Loop Header: Depth=1
	v_and_b32_e32 v4, 1, v6
	v_cmp_eq_u32_e32 vcc, 1, v4
	s_and_saveexec_b64 s[92:93], vcc
	s_cbranch_execz .LBB31_1123
; %bb.1125:                             ;   in Loop: Header=BB31_1124 Depth=1
	v_mad_u64_u32 v[36:37], vcc, s90, v8, 0
	v_mul_lo_u32 v8, s91, v8
	v_mul_lo_u32 v9, s90, v9
	v_mul_hi_u32 v4, v36, 5
	v_add3_u32 v39, v37, v9, v8
	v_mad_u64_u32 v[8:9], vcc, v39, 5, v[4:5]
	v_mov_b32_e32 v4, v8
	v_mad_u64_u32 v[37:38], vcc, v36, 2, v[4:5]
	v_add_co_u32_e32 v8, vcc, v9, v38
	v_addc_co_u32_e64 v9, vcc, 0, 0, vcc
	v_mad_u64_u32 v[8:9], vcc, v39, 2, v[8:9]
	v_sub_co_u32_e32 v37, vcc, v36, v8
	v_subb_co_u32_e32 v38, vcc, v39, v9, vcc
	v_lshrrev_b64 v[37:38], 1, v[37:38]
	v_add_co_u32_e32 v4, vcc, v37, v8
	v_addc_co_u32_e32 v37, vcc, v38, v9, vcc
	v_alignbit_b32 v4, v37, v4, 30
	v_mad_u64_u32 v[8:9], vcc, v4, s94, 0
	v_lshrrev_b32_e32 v37, 30, v37
	v_mov_b32_e32 v4, v9
	v_mad_u64_u32 v[37:38], vcc, v37, s94, v[4:5]
	v_sub_co_u32_e32 v8, vcc, v36, v8
	v_subb_co_u32_e32 v9, vcc, v39, v37, vcc
	s_branch .LBB31_1123
.LBB31_1126:
	s_or_b64 exec, exec, s[88:89]
	v_add_u32_e32 v4, 0x80000001, v8
	v_min_u32_e32 v4, v4, v8
	v_add_u32_e32 v5, 0x80000001, v4
	v_min_u32_e32 v6, v5, v4
.LBB31_1127:
	s_or_b64 exec, exec, s[76:77]
	v_mov_b32_e32 v5, 0
	s_movk_i32 s88, 0x1388
	s_mov_b32 s89, 0xbc8f1391
	s_mov_b32 s90, 0xbc8f
	s_brev_b32 s91, 12
	s_mov_b32 s92, 0xf800000
	v_mov_b32_e32 v4, 0x260
.LBB31_1128:                            ; =>This Inner Loop Header: Depth=1
	v_mul_hi_u32 v7, v6, s89
	v_add_f32_e32 v8, 1.0, v5
	s_add_i32 s88, s88, -2
	s_cmp_lg_u32 s88, 0
	v_lshrrev_b32_e32 v7, 15, v7
	v_mul_u32_u24_e32 v9, 0xadc8, v7
	v_sub_u32_e32 v6, v6, v9
	v_mul_lo_u32 v6, v6, s90
	v_mul_u32_u24_e32 v7, 0xd47, v7
	v_xor_b32_e32 v9, 0x7fffffff, v7
	v_sub_u32_e32 v36, 0, v7
	v_cmp_lt_u32_e32 vcc, v6, v7
	v_cndmask_b32_e32 v7, v36, v9, vcc
	v_add_u32_e32 v6, v7, v6
	v_mul_hi_u32 v9, v6, s89
	v_add_u32_e32 v7, -1, v6
	v_cvt_f32_u32_e32 v7, v7
	v_lshrrev_b32_e32 v9, 15, v9
	v_mul_u32_u24_e32 v36, 0xadc8, v9
	v_sub_u32_e32 v6, v6, v36
	v_mul_lo_u32 v6, v6, s90
	v_mul_u32_u24_e32 v9, 0xd47, v9
	v_xor_b32_e32 v36, 0x7fffffff, v9
	v_sub_u32_e32 v37, 0, v9
	v_cmp_lt_u32_e32 vcc, v6, v9
	v_cndmask_b32_e32 v9, v37, v36, vcc
	v_add_u32_e32 v6, v9, v6
	v_mul_hi_u32 v36, v6, s89
	v_add_u32_e32 v9, -1, v6
	v_cvt_f32_u32_e32 v9, v9
	v_fma_f32 v7, v7, s91, 0
	v_lshrrev_b32_e32 v36, 15, v36
	v_mul_u32_u24_e32 v37, 0xadc8, v36
	v_fma_f32 v9, v9, s91, 0
	v_sub_u32_e32 v6, v6, v37
	v_mul_f32_e32 v9, v9, v9
	v_mul_lo_u32 v6, v6, s90
	v_fmac_f32_e32 v9, v7, v7
	v_mul_f32_e32 v7, 0x4f800000, v9
	v_cmp_gt_f32_e32 vcc, s92, v9
	v_mul_u32_u24_e32 v36, 0xd47, v36
	v_cndmask_b32_e32 v7, v9, v7, vcc
	v_xor_b32_e32 v37, 0x7fffffff, v36
	v_sub_u32_e32 v38, 0, v36
	v_sqrt_f32_e32 v9, v7
	v_cmp_lt_u32_e64 s[76:77], v6, v36
	v_cndmask_b32_e64 v36, v38, v37, s[76:77]
	v_add_u32_e32 v6, v36, v6
	v_mul_hi_u32 v37, v6, s89
	v_add_u32_e32 v38, -1, v9
	v_add_u32_e32 v39, 1, v9
	v_fma_f32 v48, -v38, v9, v7
	v_fma_f32 v49, -v39, v9, v7
	v_cmp_ge_f32_e64 s[76:77], 0, v48
	v_cndmask_b32_e64 v9, v9, v38, s[76:77]
	v_cmp_lt_f32_e64 s[76:77], 0, v49
	v_lshrrev_b32_e32 v37, 15, v37
	v_cndmask_b32_e64 v9, v9, v39, s[76:77]
	v_mul_u32_u24_e32 v39, 0xadc8, v37
	v_add_u32_e32 v36, -1, v6
	v_sub_u32_e32 v6, v6, v39
	v_mul_f32_e32 v38, 0x37800000, v9
	v_mul_lo_u32 v6, v6, s90
	v_cndmask_b32_e32 v9, v9, v38, vcc
	v_cmp_class_f32_e32 vcc, v7, v4
	v_cndmask_b32_e32 v7, v9, v7, vcc
	v_mul_u32_u24_e32 v37, 0xd47, v37
	v_cmp_nge_f32_e32 vcc, 1.0, v7
	v_xor_b32_e32 v38, 0x7fffffff, v37
	v_sub_u32_e32 v39, 0, v37
	v_cndmask_b32_e32 v5, v8, v5, vcc
	v_cmp_lt_u32_e32 vcc, v6, v37
	v_cndmask_b32_e32 v8, v39, v38, vcc
	v_add_u32_e32 v6, v8, v6
	v_add_u32_e32 v8, -1, v6
	v_cvt_f32_u32_e32 v8, v8
	v_cvt_f32_u32_e32 v36, v36
	v_add_f32_e32 v7, 1.0, v5
	v_fma_f32 v8, v8, s91, 0
	v_fma_f32 v36, v36, s91, 0
	v_mul_f32_e32 v8, v8, v8
	v_fmac_f32_e32 v8, v36, v36
	v_mul_f32_e32 v9, 0x4f800000, v8
	v_cmp_gt_f32_e32 vcc, s92, v8
	v_cndmask_b32_e32 v8, v8, v9, vcc
	v_sqrt_f32_e32 v9, v8
	v_add_u32_e32 v36, -1, v9
	v_add_u32_e32 v37, 1, v9
	v_fma_f32 v38, -v36, v9, v8
	v_fma_f32 v39, -v37, v9, v8
	v_cmp_ge_f32_e64 s[76:77], 0, v38
	v_cndmask_b32_e64 v9, v9, v36, s[76:77]
	v_cmp_lt_f32_e64 s[76:77], 0, v39
	v_cndmask_b32_e64 v9, v9, v37, s[76:77]
	v_mul_f32_e32 v36, 0x37800000, v9
	v_cndmask_b32_e32 v9, v9, v36, vcc
	v_cmp_class_f32_e32 vcc, v8, v4
	v_cndmask_b32_e32 v8, v9, v8, vcc
	v_cmp_nge_f32_e32 vcc, 1.0, v8
	v_cndmask_b32_e32 v5, v7, v5, vcc
	s_cbranch_scc1 .LBB31_1128
; %bb.1129:
	v_mul_f32_e32 v4, 4.0, v5
	s_mov_b32 s88, 0x459c4000
	v_div_scale_f32 v5, s[76:77], s88, s88, v4
	v_div_scale_f32 v6, vcc, v4, s88, v4
	v_rcp_f32_e32 v7, v5
	v_fma_f32 v8, -v5, v7, 1.0
	v_fmac_f32_e32 v7, v8, v7
	v_mul_f32_e32 v8, v6, v7
	v_fma_f32 v9, -v5, v8, v6
	v_fmac_f32_e32 v8, v9, v7
	v_fma_f32 v5, -v5, v8, v6
	v_div_fmas_f32 v5, v5, v7, v8
	v_div_fixup_f32 v36, v5, s88, v4
.LBB31_1130:
	s_or_b64 exec, exec, s[78:79]
	v_add_u32_e32 v4, 0x1700, v12
	v_cmp_lt_u32_e64 s[76:77], v4, v10
                                        ; implicit-def: $vgpr37
	s_and_saveexec_b64 s[88:89], s[76:77]
	s_cbranch_execz .LBB31_1140
; %bb.1131:
	v_add_u32_e32 v4, v13, v4
	s_movk_i32 s78, 0x1388
	v_mul_lo_u32 v4, v4, s78
	v_mov_b32_e32 v6, 1
	v_cmp_ne_u32_e32 vcc, 0, v4
	s_and_saveexec_b64 s[78:79], vcc
	s_cbranch_execz .LBB31_1137
; %bb.1132:
	v_mov_b32_e32 v5, 0
	v_mov_b32_e32 v8, 1
	;; [unrolled: 1-line block ×3, first 2 shown]
	s_mov_b64 s[92:93], 0xbc8f
	v_mov_b32_e32 v9, 0
	s_mov_b64 s[90:91], 0
	s_brev_b32 s30, -2
	v_mov_b32_e32 v6, v4
	s_branch .LBB31_1134
.LBB31_1133:                            ;   in Loop: Header=BB31_1134 Depth=1
	s_or_b64 exec, exec, s[94:95]
	s_mul_i32 s93, s92, s93
	s_mul_hi_u32 s94, s92, s92
	s_add_i32 s94, s94, s93
	s_add_i32 s94, s94, s93
	s_mul_i32 s95, s92, s92
	s_mul_i32 s93, s94, 3
	s_mul_hi_u32 vcc_lo, s95, 3
	s_mul_hi_u32 s92, s94, 3
	s_add_u32 s93, s93, vcc_lo
	s_addc_u32 s92, s92, 0
	s_mul_i32 vcc_hi, s95, 0x80000001
	s_mul_hi_u32 vcc_lo, s95, 0x80000001
	s_add_u32 s93, vcc_hi, s93
	s_addc_u32 s93, vcc_lo, 0
	s_add_u32 s92, s92, s93
	s_addc_u32 s93, 0, 0
	s_mul_i32 vcc_hi, s94, 0x80000001
	s_mul_hi_u32 vcc_lo, s94, 0x80000001
	s_add_u32 s92, vcc_hi, s92
	s_addc_u32 s93, vcc_lo, s93
	s_lshr_b32 vcc_lo, s93, 30
	s_lshr_b64 s[92:93], s[92:93], 30
	s_mul_i32 vcc_lo, vcc_lo, 0x7fffffff
	s_mul_hi_u32 s93, s92, 0x7fffffff
	v_lshrrev_b64 v[37:38], 1, v[6:7]
	s_add_i32 s93, s93, vcc_lo
	s_mul_i32 s92, s92, 0x7fffffff
	s_sub_u32 s92, s95, s92
	v_cmp_gt_u64_e32 vcc, 2, v[6:7]
	s_subb_u32 s93, s94, s93
	v_mov_b32_e32 v6, v37
	s_or_b64 s[90:91], vcc, s[90:91]
	v_mov_b32_e32 v7, v38
	s_andn2_b64 exec, exec, s[90:91]
	s_cbranch_execz .LBB31_1136
.LBB31_1134:                            ; =>This Inner Loop Header: Depth=1
	v_and_b32_e32 v4, 1, v6
	v_cmp_eq_u32_e32 vcc, 1, v4
	s_and_saveexec_b64 s[94:95], vcc
	s_cbranch_execz .LBB31_1133
; %bb.1135:                             ;   in Loop: Header=BB31_1134 Depth=1
	v_mad_u64_u32 v[37:38], vcc, s92, v8, 0
	v_mul_lo_u32 v8, s93, v8
	v_mul_lo_u32 v9, s92, v9
	v_mul_hi_u32 v4, v37, 5
	v_add3_u32 v48, v38, v9, v8
	v_mad_u64_u32 v[8:9], vcc, v48, 5, v[4:5]
	v_mov_b32_e32 v4, v8
	v_mad_u64_u32 v[38:39], vcc, v37, 2, v[4:5]
	v_add_co_u32_e32 v8, vcc, v9, v39
	v_addc_co_u32_e64 v9, vcc, 0, 0, vcc
	v_mad_u64_u32 v[8:9], vcc, v48, 2, v[8:9]
	v_sub_co_u32_e32 v38, vcc, v37, v8
	v_subb_co_u32_e32 v39, vcc, v48, v9, vcc
	v_lshrrev_b64 v[38:39], 1, v[38:39]
	v_add_co_u32_e32 v4, vcc, v38, v8
	v_addc_co_u32_e32 v38, vcc, v39, v9, vcc
	v_alignbit_b32 v4, v38, v4, 30
	v_mad_u64_u32 v[8:9], vcc, v4, s30, 0
	v_lshrrev_b32_e32 v38, 30, v38
	v_mov_b32_e32 v4, v9
	v_mad_u64_u32 v[38:39], vcc, v38, s30, v[4:5]
	v_sub_co_u32_e32 v8, vcc, v37, v8
	v_subb_co_u32_e32 v9, vcc, v48, v38, vcc
	s_branch .LBB31_1133
.LBB31_1136:
	s_or_b64 exec, exec, s[90:91]
	v_add_u32_e32 v4, 0x80000001, v8
	v_min_u32_e32 v4, v4, v8
	v_add_u32_e32 v5, 0x80000001, v4
	v_min_u32_e32 v6, v5, v4
.LBB31_1137:
	s_or_b64 exec, exec, s[78:79]
	v_mov_b32_e32 v5, 0
	s_movk_i32 s90, 0x1388
	s_mov_b32 s91, 0xbc8f1391
	s_mov_b32 s92, 0xbc8f
	s_brev_b32 s93, 12
	s_mov_b32 s94, 0xf800000
	v_mov_b32_e32 v4, 0x260
.LBB31_1138:                            ; =>This Inner Loop Header: Depth=1
	v_mul_hi_u32 v7, v6, s91
	v_add_f32_e32 v8, 1.0, v5
	s_add_i32 s90, s90, -2
	s_cmp_lg_u32 s90, 0
	v_lshrrev_b32_e32 v7, 15, v7
	v_mul_u32_u24_e32 v9, 0xadc8, v7
	v_sub_u32_e32 v6, v6, v9
	v_mul_lo_u32 v6, v6, s92
	v_mul_u32_u24_e32 v7, 0xd47, v7
	v_xor_b32_e32 v9, 0x7fffffff, v7
	v_sub_u32_e32 v37, 0, v7
	v_cmp_lt_u32_e32 vcc, v6, v7
	v_cndmask_b32_e32 v7, v37, v9, vcc
	v_add_u32_e32 v6, v7, v6
	v_mul_hi_u32 v9, v6, s91
	v_add_u32_e32 v7, -1, v6
	v_cvt_f32_u32_e32 v7, v7
	v_lshrrev_b32_e32 v9, 15, v9
	v_mul_u32_u24_e32 v37, 0xadc8, v9
	v_sub_u32_e32 v6, v6, v37
	v_mul_lo_u32 v6, v6, s92
	v_mul_u32_u24_e32 v9, 0xd47, v9
	v_xor_b32_e32 v37, 0x7fffffff, v9
	v_sub_u32_e32 v38, 0, v9
	v_cmp_lt_u32_e32 vcc, v6, v9
	v_cndmask_b32_e32 v9, v38, v37, vcc
	v_add_u32_e32 v6, v9, v6
	v_mul_hi_u32 v37, v6, s91
	v_add_u32_e32 v9, -1, v6
	v_cvt_f32_u32_e32 v9, v9
	v_fma_f32 v7, v7, s93, 0
	v_lshrrev_b32_e32 v37, 15, v37
	v_mul_u32_u24_e32 v38, 0xadc8, v37
	v_fma_f32 v9, v9, s93, 0
	v_sub_u32_e32 v6, v6, v38
	v_mul_f32_e32 v9, v9, v9
	v_mul_lo_u32 v6, v6, s92
	v_fmac_f32_e32 v9, v7, v7
	v_mul_f32_e32 v7, 0x4f800000, v9
	v_cmp_gt_f32_e32 vcc, s94, v9
	v_mul_u32_u24_e32 v37, 0xd47, v37
	v_cndmask_b32_e32 v7, v9, v7, vcc
	v_xor_b32_e32 v38, 0x7fffffff, v37
	v_sub_u32_e32 v39, 0, v37
	v_sqrt_f32_e32 v9, v7
	v_cmp_lt_u32_e64 s[78:79], v6, v37
	v_cndmask_b32_e64 v37, v39, v38, s[78:79]
	v_add_u32_e32 v6, v37, v6
	v_mul_hi_u32 v38, v6, s91
	v_add_u32_e32 v39, -1, v9
	v_add_u32_e32 v48, 1, v9
	v_fma_f32 v49, -v39, v9, v7
	v_fma_f32 v50, -v48, v9, v7
	v_cmp_ge_f32_e64 s[78:79], 0, v49
	v_cndmask_b32_e64 v9, v9, v39, s[78:79]
	v_cmp_lt_f32_e64 s[78:79], 0, v50
	v_lshrrev_b32_e32 v38, 15, v38
	v_cndmask_b32_e64 v9, v9, v48, s[78:79]
	v_mul_u32_u24_e32 v48, 0xadc8, v38
	v_add_u32_e32 v37, -1, v6
	v_sub_u32_e32 v6, v6, v48
	v_mul_f32_e32 v39, 0x37800000, v9
	v_mul_lo_u32 v6, v6, s92
	v_cndmask_b32_e32 v9, v9, v39, vcc
	v_cmp_class_f32_e32 vcc, v7, v4
	v_cndmask_b32_e32 v7, v9, v7, vcc
	v_mul_u32_u24_e32 v38, 0xd47, v38
	v_cmp_nge_f32_e32 vcc, 1.0, v7
	v_xor_b32_e32 v39, 0x7fffffff, v38
	v_sub_u32_e32 v48, 0, v38
	v_cndmask_b32_e32 v5, v8, v5, vcc
	v_cmp_lt_u32_e32 vcc, v6, v38
	v_cndmask_b32_e32 v8, v48, v39, vcc
	v_add_u32_e32 v6, v8, v6
	v_add_u32_e32 v8, -1, v6
	v_cvt_f32_u32_e32 v8, v8
	v_cvt_f32_u32_e32 v37, v37
	v_add_f32_e32 v7, 1.0, v5
	v_fma_f32 v8, v8, s93, 0
	v_fma_f32 v37, v37, s93, 0
	v_mul_f32_e32 v8, v8, v8
	v_fmac_f32_e32 v8, v37, v37
	v_mul_f32_e32 v9, 0x4f800000, v8
	v_cmp_gt_f32_e32 vcc, s94, v8
	v_cndmask_b32_e32 v8, v8, v9, vcc
	v_sqrt_f32_e32 v9, v8
	v_add_u32_e32 v37, -1, v9
	v_add_u32_e32 v38, 1, v9
	v_fma_f32 v39, -v37, v9, v8
	v_fma_f32 v48, -v38, v9, v8
	v_cmp_ge_f32_e64 s[78:79], 0, v39
	v_cndmask_b32_e64 v9, v9, v37, s[78:79]
	v_cmp_lt_f32_e64 s[78:79], 0, v48
	v_cndmask_b32_e64 v9, v9, v38, s[78:79]
	v_mul_f32_e32 v37, 0x37800000, v9
	v_cndmask_b32_e32 v9, v9, v37, vcc
	v_cmp_class_f32_e32 vcc, v8, v4
	v_cndmask_b32_e32 v8, v9, v8, vcc
	v_cmp_nge_f32_e32 vcc, 1.0, v8
	v_cndmask_b32_e32 v5, v7, v5, vcc
	s_cbranch_scc1 .LBB31_1138
; %bb.1139:
	v_mul_f32_e32 v4, 4.0, v5
	s_mov_b32 s90, 0x459c4000
	v_div_scale_f32 v5, s[78:79], s90, s90, v4
	v_div_scale_f32 v6, vcc, v4, s90, v4
	v_rcp_f32_e32 v7, v5
	v_fma_f32 v8, -v5, v7, 1.0
	v_fmac_f32_e32 v7, v8, v7
	v_mul_f32_e32 v8, v6, v7
	v_fma_f32 v9, -v5, v8, v6
	v_fmac_f32_e32 v8, v9, v7
	v_fma_f32 v5, -v5, v8, v6
	v_div_fmas_f32 v5, v5, v7, v8
	v_div_fixup_f32 v37, v5, s90, v4
.LBB31_1140:
	s_or_b64 exec, exec, s[88:89]
	v_or_b32_e32 v4, 0x1800, v12
	v_cmp_lt_u32_e64 s[78:79], v4, v10
                                        ; implicit-def: $vgpr38
	s_and_saveexec_b64 s[90:91], s[78:79]
	s_cbranch_execz .LBB31_1150
; %bb.1141:
	v_add_u32_e32 v4, v13, v4
	s_movk_i32 s88, 0x1388
	v_mul_lo_u32 v4, v4, s88
	v_mov_b32_e32 v6, 1
	v_cmp_ne_u32_e32 vcc, 0, v4
	s_and_saveexec_b64 s[88:89], vcc
	s_cbranch_execz .LBB31_1147
; %bb.1142:
	v_mov_b32_e32 v5, 0
	v_mov_b32_e32 v8, 1
	;; [unrolled: 1-line block ×3, first 2 shown]
	s_mov_b64 s[94:95], 0xbc8f
	v_mov_b32_e32 v9, 0
	s_mov_b64 s[92:93], 0
	s_brev_b32 s34, -2
	v_mov_b32_e32 v6, v4
	s_branch .LBB31_1144
.LBB31_1143:                            ;   in Loop: Header=BB31_1144 Depth=1
	s_or_b64 exec, exec, s[30:31]
	s_mul_i32 s95, s94, s95
	s_mul_hi_u32 vcc_lo, s94, s94
	s_add_i32 vcc_lo, vcc_lo, s95
	s_add_i32 s30, vcc_lo, s95
	s_mul_i32 vcc_lo, s94, s94
	s_mul_i32 s95, s30, 3
	s_mul_hi_u32 vcc_hi, vcc_lo, 3
	s_mul_hi_u32 s94, s30, 3
	s_add_u32 s95, s95, vcc_hi
	s_addc_u32 s94, s94, 0
	s_mul_i32 s31, vcc_lo, 0x80000001
	s_mul_hi_u32 vcc_hi, vcc_lo, 0x80000001
	s_add_u32 s95, s31, s95
	s_addc_u32 s95, vcc_hi, 0
	s_add_u32 s94, s94, s95
	s_addc_u32 s95, 0, 0
	s_mul_i32 s31, s30, 0x80000001
	s_mul_hi_u32 vcc_hi, s30, 0x80000001
	s_add_u32 s94, s31, s94
	s_addc_u32 s95, vcc_hi, s95
	s_lshr_b32 vcc_hi, s95, 30
	s_lshr_b64 s[94:95], s[94:95], 30
	s_mul_i32 vcc_hi, vcc_hi, 0x7fffffff
	s_mul_hi_u32 s95, s94, 0x7fffffff
	v_lshrrev_b64 v[38:39], 1, v[6:7]
	s_add_i32 s95, s95, vcc_hi
	s_mul_i32 s94, s94, 0x7fffffff
	s_sub_u32 s94, vcc_lo, s94
	v_cmp_gt_u64_e32 vcc, 2, v[6:7]
	s_subb_u32 s95, s30, s95
	v_mov_b32_e32 v6, v38
	s_or_b64 s[92:93], vcc, s[92:93]
	v_mov_b32_e32 v7, v39
	s_andn2_b64 exec, exec, s[92:93]
	s_cbranch_execz .LBB31_1146
.LBB31_1144:                            ; =>This Inner Loop Header: Depth=1
	v_and_b32_e32 v4, 1, v6
	v_cmp_eq_u32_e32 vcc, 1, v4
	s_and_saveexec_b64 s[30:31], vcc
	s_cbranch_execz .LBB31_1143
; %bb.1145:                             ;   in Loop: Header=BB31_1144 Depth=1
	v_mad_u64_u32 v[38:39], vcc, s94, v8, 0
	v_mul_lo_u32 v8, s95, v8
	v_mul_lo_u32 v9, s94, v9
	v_mul_hi_u32 v4, v38, 5
	v_add3_u32 v39, v39, v9, v8
	v_mad_u64_u32 v[8:9], vcc, v39, 5, v[4:5]
	v_mov_b32_e32 v4, v8
	v_mad_u64_u32 v[48:49], vcc, v38, 2, v[4:5]
	v_add_co_u32_e32 v8, vcc, v9, v49
	v_addc_co_u32_e64 v9, vcc, 0, 0, vcc
	v_mad_u64_u32 v[8:9], vcc, v39, 2, v[8:9]
	v_sub_co_u32_e32 v48, vcc, v38, v8
	v_subb_co_u32_e32 v49, vcc, v39, v9, vcc
	v_lshrrev_b64 v[48:49], 1, v[48:49]
	v_add_co_u32_e32 v4, vcc, v48, v8
	v_addc_co_u32_e32 v48, vcc, v49, v9, vcc
	v_alignbit_b32 v4, v48, v4, 30
	v_mad_u64_u32 v[8:9], vcc, v4, s34, 0
	v_lshrrev_b32_e32 v48, 30, v48
	v_mov_b32_e32 v4, v9
	v_mad_u64_u32 v[48:49], vcc, v48, s34, v[4:5]
	v_sub_co_u32_e32 v8, vcc, v38, v8
	v_subb_co_u32_e32 v9, vcc, v39, v48, vcc
	s_branch .LBB31_1143
.LBB31_1146:
	s_or_b64 exec, exec, s[92:93]
	v_add_u32_e32 v4, 0x80000001, v8
	v_min_u32_e32 v4, v4, v8
	v_add_u32_e32 v5, 0x80000001, v4
	v_min_u32_e32 v6, v5, v4
.LBB31_1147:
	s_or_b64 exec, exec, s[88:89]
	v_mov_b32_e32 v5, 0
	s_movk_i32 s92, 0x1388
	s_mov_b32 s93, 0xbc8f1391
	s_mov_b32 s94, 0xbc8f
	s_brev_b32 s95, 12
	s_mov_b32 s30, 0xf800000
	v_mov_b32_e32 v4, 0x260
.LBB31_1148:                            ; =>This Inner Loop Header: Depth=1
	v_mul_hi_u32 v7, v6, s93
	v_add_f32_e32 v8, 1.0, v5
	s_add_i32 s92, s92, -2
	s_cmp_lg_u32 s92, 0
	v_lshrrev_b32_e32 v7, 15, v7
	v_mul_u32_u24_e32 v9, 0xadc8, v7
	v_sub_u32_e32 v6, v6, v9
	v_mul_lo_u32 v6, v6, s94
	v_mul_u32_u24_e32 v7, 0xd47, v7
	v_xor_b32_e32 v9, 0x7fffffff, v7
	v_sub_u32_e32 v38, 0, v7
	v_cmp_lt_u32_e32 vcc, v6, v7
	v_cndmask_b32_e32 v7, v38, v9, vcc
	v_add_u32_e32 v6, v7, v6
	v_mul_hi_u32 v9, v6, s93
	v_add_u32_e32 v7, -1, v6
	v_cvt_f32_u32_e32 v7, v7
	v_lshrrev_b32_e32 v9, 15, v9
	v_mul_u32_u24_e32 v38, 0xadc8, v9
	v_sub_u32_e32 v6, v6, v38
	v_mul_lo_u32 v6, v6, s94
	v_mul_u32_u24_e32 v9, 0xd47, v9
	v_xor_b32_e32 v38, 0x7fffffff, v9
	v_sub_u32_e32 v39, 0, v9
	v_cmp_lt_u32_e32 vcc, v6, v9
	v_cndmask_b32_e32 v9, v39, v38, vcc
	v_add_u32_e32 v6, v9, v6
	v_mul_hi_u32 v38, v6, s93
	v_add_u32_e32 v9, -1, v6
	v_cvt_f32_u32_e32 v9, v9
	v_fma_f32 v7, v7, s95, 0
	v_lshrrev_b32_e32 v38, 15, v38
	v_mul_u32_u24_e32 v39, 0xadc8, v38
	v_fma_f32 v9, v9, s95, 0
	v_sub_u32_e32 v6, v6, v39
	v_mul_f32_e32 v9, v9, v9
	v_mul_lo_u32 v6, v6, s94
	v_fmac_f32_e32 v9, v7, v7
	v_mul_f32_e32 v7, 0x4f800000, v9
	v_cmp_gt_f32_e32 vcc, s30, v9
	v_mul_u32_u24_e32 v38, 0xd47, v38
	v_cndmask_b32_e32 v7, v9, v7, vcc
	v_xor_b32_e32 v39, 0x7fffffff, v38
	v_sub_u32_e32 v48, 0, v38
	v_sqrt_f32_e32 v9, v7
	v_cmp_lt_u32_e64 s[88:89], v6, v38
	v_cndmask_b32_e64 v38, v48, v39, s[88:89]
	v_add_u32_e32 v6, v38, v6
	v_mul_hi_u32 v39, v6, s93
	v_add_u32_e32 v48, -1, v9
	v_add_u32_e32 v49, 1, v9
	v_fma_f32 v50, -v48, v9, v7
	v_fma_f32 v51, -v49, v9, v7
	v_cmp_ge_f32_e64 s[88:89], 0, v50
	v_cndmask_b32_e64 v9, v9, v48, s[88:89]
	v_cmp_lt_f32_e64 s[88:89], 0, v51
	v_lshrrev_b32_e32 v39, 15, v39
	v_cndmask_b32_e64 v9, v9, v49, s[88:89]
	v_mul_u32_u24_e32 v49, 0xadc8, v39
	v_add_u32_e32 v38, -1, v6
	v_sub_u32_e32 v6, v6, v49
	v_mul_f32_e32 v48, 0x37800000, v9
	v_mul_lo_u32 v6, v6, s94
	v_cndmask_b32_e32 v9, v9, v48, vcc
	v_cmp_class_f32_e32 vcc, v7, v4
	v_cndmask_b32_e32 v7, v9, v7, vcc
	v_mul_u32_u24_e32 v39, 0xd47, v39
	v_cmp_nge_f32_e32 vcc, 1.0, v7
	v_xor_b32_e32 v48, 0x7fffffff, v39
	v_sub_u32_e32 v49, 0, v39
	v_cndmask_b32_e32 v5, v8, v5, vcc
	v_cmp_lt_u32_e32 vcc, v6, v39
	v_cndmask_b32_e32 v8, v49, v48, vcc
	v_add_u32_e32 v6, v8, v6
	v_add_u32_e32 v8, -1, v6
	v_cvt_f32_u32_e32 v8, v8
	v_cvt_f32_u32_e32 v38, v38
	v_add_f32_e32 v7, 1.0, v5
	v_fma_f32 v8, v8, s95, 0
	v_fma_f32 v38, v38, s95, 0
	v_mul_f32_e32 v8, v8, v8
	v_fmac_f32_e32 v8, v38, v38
	v_mul_f32_e32 v9, 0x4f800000, v8
	v_cmp_gt_f32_e32 vcc, s30, v8
	v_cndmask_b32_e32 v8, v8, v9, vcc
	v_sqrt_f32_e32 v9, v8
	v_add_u32_e32 v38, -1, v9
	v_add_u32_e32 v39, 1, v9
	v_fma_f32 v48, -v38, v9, v8
	v_fma_f32 v49, -v39, v9, v8
	v_cmp_ge_f32_e64 s[88:89], 0, v48
	v_cndmask_b32_e64 v9, v9, v38, s[88:89]
	v_cmp_lt_f32_e64 s[88:89], 0, v49
	v_cndmask_b32_e64 v9, v9, v39, s[88:89]
	v_mul_f32_e32 v38, 0x37800000, v9
	v_cndmask_b32_e32 v9, v9, v38, vcc
	v_cmp_class_f32_e32 vcc, v8, v4
	v_cndmask_b32_e32 v8, v9, v8, vcc
	v_cmp_nge_f32_e32 vcc, 1.0, v8
	v_cndmask_b32_e32 v5, v7, v5, vcc
	s_cbranch_scc1 .LBB31_1148
; %bb.1149:
	v_mul_f32_e32 v4, 4.0, v5
	s_mov_b32 s92, 0x459c4000
	v_div_scale_f32 v5, s[88:89], s92, s92, v4
	v_div_scale_f32 v6, vcc, v4, s92, v4
	v_rcp_f32_e32 v7, v5
	v_fma_f32 v8, -v5, v7, 1.0
	v_fmac_f32_e32 v7, v8, v7
	v_mul_f32_e32 v8, v6, v7
	v_fma_f32 v9, -v5, v8, v6
	v_fmac_f32_e32 v8, v9, v7
	v_fma_f32 v5, -v5, v8, v6
	v_div_fmas_f32 v5, v5, v7, v8
	v_div_fixup_f32 v38, v5, s92, v4
.LBB31_1150:
	s_or_b64 exec, exec, s[90:91]
	v_add_u32_e32 v4, 0x1900, v12
	v_cmp_lt_u32_e64 s[88:89], v4, v10
                                        ; implicit-def: $vgpr39
	s_and_saveexec_b64 s[92:93], s[88:89]
	s_cbranch_execz .LBB31_1160
; %bb.1151:
	v_add_u32_e32 v4, v13, v4
	s_movk_i32 s90, 0x1388
	v_mul_lo_u32 v4, v4, s90
	v_mov_b32_e32 v6, 1
	v_cmp_ne_u32_e32 vcc, 0, v4
	s_and_saveexec_b64 s[90:91], vcc
	s_cbranch_execz .LBB31_1157
; %bb.1152:
	v_mov_b32_e32 v5, 0
	v_mov_b32_e32 v8, 1
	;; [unrolled: 1-line block ×3, first 2 shown]
	s_mov_b64 s[30:31], 0xbc8f
	v_mov_b32_e32 v9, 0
	s_mov_b64 s[94:95], 0
	s_brev_b32 s36, -2
	v_mov_b32_e32 v6, v4
	s_branch .LBB31_1154
.LBB31_1153:                            ;   in Loop: Header=BB31_1154 Depth=1
	s_or_b64 exec, exec, s[34:35]
	s_mul_i32 vcc_lo, s30, s31
	s_mul_hi_u32 vcc_hi, s30, s30
	s_add_i32 vcc_hi, vcc_hi, vcc_lo
	s_add_i32 s31, vcc_hi, vcc_lo
	s_mul_i32 s30, s30, s30
	s_mul_i32 vcc_hi, s31, 3
	s_mul_hi_u32 s34, s30, 3
	s_mul_hi_u32 vcc_lo, s31, 3
	s_add_u32 vcc_hi, vcc_hi, s34
	s_addc_u32 vcc_lo, vcc_lo, 0
	s_mul_i32 s35, s30, 0x80000001
	s_mul_hi_u32 s34, s30, 0x80000001
	s_add_u32 vcc_hi, s35, vcc_hi
	s_addc_u32 vcc_hi, s34, 0
	s_add_u32 vcc_lo, vcc_lo, vcc_hi
	s_addc_u32 vcc_hi, 0, 0
	s_mul_i32 s35, s31, 0x80000001
	s_mul_hi_u32 s34, s31, 0x80000001
	s_add_u32 vcc_lo, s35, vcc_lo
	s_addc_u32 vcc_hi, s34, vcc_hi
	s_lshr_b32 s34, vcc_hi, 30
	s_lshr_b64 vcc, vcc, 30
	s_mul_i32 s34, s34, 0x7fffffff
	s_mul_hi_u32 vcc_hi, vcc_lo, 0x7fffffff
	v_lshrrev_b64 v[48:49], 1, v[6:7]
	s_add_i32 s34, vcc_hi, s34
	s_mul_i32 vcc_lo, vcc_lo, 0x7fffffff
	s_sub_u32 s30, s30, vcc_lo
	v_cmp_gt_u64_e32 vcc, 2, v[6:7]
	s_subb_u32 s31, s31, s34
	v_mov_b32_e32 v6, v48
	s_or_b64 s[94:95], vcc, s[94:95]
	v_mov_b32_e32 v7, v49
	s_andn2_b64 exec, exec, s[94:95]
	s_cbranch_execz .LBB31_1156
.LBB31_1154:                            ; =>This Inner Loop Header: Depth=1
	v_and_b32_e32 v4, 1, v6
	v_cmp_eq_u32_e32 vcc, 1, v4
	s_and_saveexec_b64 s[34:35], vcc
	s_cbranch_execz .LBB31_1153
; %bb.1155:                             ;   in Loop: Header=BB31_1154 Depth=1
	v_mad_u64_u32 v[48:49], vcc, s30, v8, 0
	v_mul_lo_u32 v8, s31, v8
	v_mul_lo_u32 v9, s30, v9
	v_mul_hi_u32 v4, v48, 5
	v_add3_u32 v39, v49, v9, v8
	v_mad_u64_u32 v[8:9], vcc, v39, 5, v[4:5]
	v_mov_b32_e32 v4, v8
	v_mad_u64_u32 v[49:50], vcc, v48, 2, v[4:5]
	v_add_co_u32_e32 v8, vcc, v9, v50
	v_addc_co_u32_e64 v9, vcc, 0, 0, vcc
	v_mad_u64_u32 v[8:9], vcc, v39, 2, v[8:9]
	v_sub_co_u32_e32 v49, vcc, v48, v8
	v_subb_co_u32_e32 v50, vcc, v39, v9, vcc
	v_lshrrev_b64 v[49:50], 1, v[49:50]
	v_add_co_u32_e32 v4, vcc, v49, v8
	v_addc_co_u32_e32 v49, vcc, v50, v9, vcc
	v_alignbit_b32 v4, v49, v4, 30
	v_mad_u64_u32 v[8:9], vcc, v4, s36, 0
	v_lshrrev_b32_e32 v49, 30, v49
	v_mov_b32_e32 v4, v9
	v_mad_u64_u32 v[49:50], vcc, v49, s36, v[4:5]
	v_sub_co_u32_e32 v8, vcc, v48, v8
	v_subb_co_u32_e32 v9, vcc, v39, v49, vcc
	s_branch .LBB31_1153
.LBB31_1156:
	s_or_b64 exec, exec, s[94:95]
	v_add_u32_e32 v4, 0x80000001, v8
	v_min_u32_e32 v4, v4, v8
	v_add_u32_e32 v5, 0x80000001, v4
	v_min_u32_e32 v6, v5, v4
.LBB31_1157:
	s_or_b64 exec, exec, s[90:91]
	v_mov_b32_e32 v5, 0
	s_movk_i32 s94, 0x1388
	s_mov_b32 s95, 0xbc8f1391
	s_mov_b32 s30, 0xbc8f
	s_brev_b32 s31, 12
	s_mov_b32 s34, 0xf800000
	v_mov_b32_e32 v4, 0x260
.LBB31_1158:                            ; =>This Inner Loop Header: Depth=1
	v_mul_hi_u32 v7, v6, s95
	v_add_f32_e32 v8, 1.0, v5
	s_add_i32 s94, s94, -2
	s_cmp_lg_u32 s94, 0
	v_lshrrev_b32_e32 v7, 15, v7
	v_mul_u32_u24_e32 v9, 0xadc8, v7
	v_sub_u32_e32 v6, v6, v9
	v_mul_lo_u32 v6, v6, s30
	v_mul_u32_u24_e32 v7, 0xd47, v7
	v_xor_b32_e32 v9, 0x7fffffff, v7
	v_sub_u32_e32 v39, 0, v7
	v_cmp_lt_u32_e32 vcc, v6, v7
	v_cndmask_b32_e32 v7, v39, v9, vcc
	v_add_u32_e32 v6, v7, v6
	v_mul_hi_u32 v9, v6, s95
	v_add_u32_e32 v7, -1, v6
	v_cvt_f32_u32_e32 v7, v7
	v_lshrrev_b32_e32 v9, 15, v9
	v_mul_u32_u24_e32 v39, 0xadc8, v9
	v_sub_u32_e32 v6, v6, v39
	v_mul_lo_u32 v6, v6, s30
	v_mul_u32_u24_e32 v9, 0xd47, v9
	v_xor_b32_e32 v39, 0x7fffffff, v9
	v_sub_u32_e32 v48, 0, v9
	v_cmp_lt_u32_e32 vcc, v6, v9
	v_cndmask_b32_e32 v9, v48, v39, vcc
	v_add_u32_e32 v6, v9, v6
	v_mul_hi_u32 v39, v6, s95
	v_add_u32_e32 v9, -1, v6
	v_cvt_f32_u32_e32 v9, v9
	v_fma_f32 v7, v7, s31, 0
	v_lshrrev_b32_e32 v39, 15, v39
	v_mul_u32_u24_e32 v48, 0xadc8, v39
	v_fma_f32 v9, v9, s31, 0
	v_sub_u32_e32 v6, v6, v48
	v_mul_f32_e32 v9, v9, v9
	v_mul_lo_u32 v6, v6, s30
	v_fmac_f32_e32 v9, v7, v7
	v_mul_f32_e32 v7, 0x4f800000, v9
	v_cmp_gt_f32_e32 vcc, s34, v9
	v_mul_u32_u24_e32 v39, 0xd47, v39
	v_cndmask_b32_e32 v7, v9, v7, vcc
	v_xor_b32_e32 v48, 0x7fffffff, v39
	v_sub_u32_e32 v49, 0, v39
	v_sqrt_f32_e32 v9, v7
	v_cmp_lt_u32_e64 s[90:91], v6, v39
	v_cndmask_b32_e64 v39, v49, v48, s[90:91]
	v_add_u32_e32 v6, v39, v6
	v_mul_hi_u32 v48, v6, s95
	v_add_u32_e32 v49, -1, v9
	v_add_u32_e32 v50, 1, v9
	v_fma_f32 v51, -v49, v9, v7
	v_fma_f32 v52, -v50, v9, v7
	v_cmp_ge_f32_e64 s[90:91], 0, v51
	v_cndmask_b32_e64 v9, v9, v49, s[90:91]
	v_cmp_lt_f32_e64 s[90:91], 0, v52
	v_lshrrev_b32_e32 v48, 15, v48
	v_cndmask_b32_e64 v9, v9, v50, s[90:91]
	v_mul_u32_u24_e32 v50, 0xadc8, v48
	v_add_u32_e32 v39, -1, v6
	v_sub_u32_e32 v6, v6, v50
	v_mul_f32_e32 v49, 0x37800000, v9
	v_mul_lo_u32 v6, v6, s30
	v_cndmask_b32_e32 v9, v9, v49, vcc
	v_cmp_class_f32_e32 vcc, v7, v4
	v_cndmask_b32_e32 v7, v9, v7, vcc
	v_mul_u32_u24_e32 v48, 0xd47, v48
	v_cmp_nge_f32_e32 vcc, 1.0, v7
	v_xor_b32_e32 v49, 0x7fffffff, v48
	v_sub_u32_e32 v50, 0, v48
	v_cndmask_b32_e32 v5, v8, v5, vcc
	v_cmp_lt_u32_e32 vcc, v6, v48
	v_cndmask_b32_e32 v8, v50, v49, vcc
	v_add_u32_e32 v6, v8, v6
	v_add_u32_e32 v8, -1, v6
	v_cvt_f32_u32_e32 v8, v8
	v_cvt_f32_u32_e32 v39, v39
	v_add_f32_e32 v7, 1.0, v5
	v_fma_f32 v8, v8, s31, 0
	v_fma_f32 v39, v39, s31, 0
	v_mul_f32_e32 v8, v8, v8
	v_fmac_f32_e32 v8, v39, v39
	v_mul_f32_e32 v9, 0x4f800000, v8
	v_cmp_gt_f32_e32 vcc, s34, v8
	v_cndmask_b32_e32 v8, v8, v9, vcc
	v_sqrt_f32_e32 v9, v8
	v_add_u32_e32 v39, -1, v9
	v_add_u32_e32 v48, 1, v9
	v_fma_f32 v49, -v39, v9, v8
	v_fma_f32 v50, -v48, v9, v8
	v_cmp_ge_f32_e64 s[90:91], 0, v49
	v_cndmask_b32_e64 v9, v9, v39, s[90:91]
	v_cmp_lt_f32_e64 s[90:91], 0, v50
	v_cndmask_b32_e64 v9, v9, v48, s[90:91]
	v_mul_f32_e32 v39, 0x37800000, v9
	v_cndmask_b32_e32 v9, v9, v39, vcc
	v_cmp_class_f32_e32 vcc, v8, v4
	v_cndmask_b32_e32 v8, v9, v8, vcc
	v_cmp_nge_f32_e32 vcc, 1.0, v8
	v_cndmask_b32_e32 v5, v7, v5, vcc
	s_cbranch_scc1 .LBB31_1158
; %bb.1159:
	v_mul_f32_e32 v4, 4.0, v5
	s_mov_b32 s94, 0x459c4000
	v_div_scale_f32 v5, s[90:91], s94, s94, v4
	v_div_scale_f32 v6, vcc, v4, s94, v4
	v_rcp_f32_e32 v7, v5
	v_fma_f32 v8, -v5, v7, 1.0
	v_fmac_f32_e32 v7, v8, v7
	v_mul_f32_e32 v8, v6, v7
	v_fma_f32 v9, -v5, v8, v6
	v_fmac_f32_e32 v8, v9, v7
	v_fma_f32 v5, -v5, v8, v6
	v_div_fmas_f32 v5, v5, v7, v8
	v_div_fixup_f32 v39, v5, s94, v4
.LBB31_1160:
	s_or_b64 exec, exec, s[92:93]
	v_add_u32_e32 v4, 0x1a00, v12
	v_cmp_lt_u32_e64 s[90:91], v4, v10
                                        ; implicit-def: $vgpr48
	s_and_saveexec_b64 s[94:95], s[90:91]
	s_cbranch_execz .LBB31_1170
; %bb.1161:
	v_add_u32_e32 v4, v13, v4
	s_movk_i32 s92, 0x1388
	v_mul_lo_u32 v4, v4, s92
	v_mov_b32_e32 v6, 1
	v_cmp_ne_u32_e32 vcc, 0, v4
	s_and_saveexec_b64 s[92:93], vcc
	s_cbranch_execz .LBB31_1167
; %bb.1162:
	v_mov_b32_e32 v5, 0
	v_mov_b32_e32 v8, 1
	;; [unrolled: 1-line block ×3, first 2 shown]
	s_mov_b64 s[34:35], 0xbc8f
	v_mov_b32_e32 v9, 0
	s_mov_b64 s[30:31], 0
	s_brev_b32 s38, -2
	v_mov_b32_e32 v6, v4
	s_branch .LBB31_1164
.LBB31_1163:                            ;   in Loop: Header=BB31_1164 Depth=1
	s_or_b64 exec, exec, s[36:37]
	s_mul_i32 vcc_lo, s34, s35
	s_mul_hi_u32 vcc_hi, s34, s34
	s_add_i32 vcc_hi, vcc_hi, vcc_lo
	s_add_i32 s35, vcc_hi, vcc_lo
	s_mul_i32 s34, s34, s34
	s_mul_i32 vcc_hi, s35, 3
	s_mul_hi_u32 s36, s34, 3
	s_mul_hi_u32 vcc_lo, s35, 3
	s_add_u32 vcc_hi, vcc_hi, s36
	s_addc_u32 vcc_lo, vcc_lo, 0
	s_mul_i32 s37, s34, 0x80000001
	s_mul_hi_u32 s36, s34, 0x80000001
	s_add_u32 vcc_hi, s37, vcc_hi
	s_addc_u32 vcc_hi, s36, 0
	s_add_u32 vcc_lo, vcc_lo, vcc_hi
	s_addc_u32 vcc_hi, 0, 0
	s_mul_i32 s37, s35, 0x80000001
	s_mul_hi_u32 s36, s35, 0x80000001
	s_add_u32 vcc_lo, s37, vcc_lo
	s_addc_u32 vcc_hi, s36, vcc_hi
	s_lshr_b32 s36, vcc_hi, 30
	s_lshr_b64 vcc, vcc, 30
	s_mul_i32 s36, s36, 0x7fffffff
	s_mul_hi_u32 vcc_hi, vcc_lo, 0x7fffffff
	v_lshrrev_b64 v[48:49], 1, v[6:7]
	s_add_i32 s36, vcc_hi, s36
	s_mul_i32 vcc_lo, vcc_lo, 0x7fffffff
	s_sub_u32 s34, s34, vcc_lo
	v_cmp_gt_u64_e32 vcc, 2, v[6:7]
	s_subb_u32 s35, s35, s36
	v_mov_b32_e32 v6, v48
	s_or_b64 s[30:31], vcc, s[30:31]
	v_mov_b32_e32 v7, v49
	s_andn2_b64 exec, exec, s[30:31]
	s_cbranch_execz .LBB31_1166
.LBB31_1164:                            ; =>This Inner Loop Header: Depth=1
	v_and_b32_e32 v4, 1, v6
	v_cmp_eq_u32_e32 vcc, 1, v4
	s_and_saveexec_b64 s[36:37], vcc
	s_cbranch_execz .LBB31_1163
; %bb.1165:                             ;   in Loop: Header=BB31_1164 Depth=1
	v_mad_u64_u32 v[48:49], vcc, s34, v8, 0
	v_mul_lo_u32 v8, s35, v8
	v_mul_lo_u32 v9, s34, v9
	v_mul_hi_u32 v4, v48, 5
	v_add3_u32 v51, v49, v9, v8
	v_mad_u64_u32 v[8:9], vcc, v51, 5, v[4:5]
	v_mov_b32_e32 v4, v8
	v_mad_u64_u32 v[49:50], vcc, v48, 2, v[4:5]
	v_add_co_u32_e32 v8, vcc, v9, v50
	v_addc_co_u32_e64 v9, vcc, 0, 0, vcc
	v_mad_u64_u32 v[8:9], vcc, v51, 2, v[8:9]
	v_sub_co_u32_e32 v49, vcc, v48, v8
	v_subb_co_u32_e32 v50, vcc, v51, v9, vcc
	v_lshrrev_b64 v[49:50], 1, v[49:50]
	v_add_co_u32_e32 v4, vcc, v49, v8
	v_addc_co_u32_e32 v49, vcc, v50, v9, vcc
	v_alignbit_b32 v4, v49, v4, 30
	v_mad_u64_u32 v[8:9], vcc, v4, s38, 0
	v_lshrrev_b32_e32 v49, 30, v49
	v_mov_b32_e32 v4, v9
	v_mad_u64_u32 v[49:50], vcc, v49, s38, v[4:5]
	v_sub_co_u32_e32 v8, vcc, v48, v8
	v_subb_co_u32_e32 v9, vcc, v51, v49, vcc
	s_branch .LBB31_1163
.LBB31_1166:
	s_or_b64 exec, exec, s[30:31]
	v_add_u32_e32 v4, 0x80000001, v8
	v_min_u32_e32 v4, v4, v8
	v_add_u32_e32 v5, 0x80000001, v4
	v_min_u32_e32 v6, v5, v4
.LBB31_1167:
	s_or_b64 exec, exec, s[92:93]
	v_mov_b32_e32 v5, 0
	s_movk_i32 s30, 0x1388
	s_mov_b32 s31, 0xbc8f1391
	s_mov_b32 s34, 0xbc8f
	s_brev_b32 s35, 12
	s_mov_b32 s36, 0xf800000
	v_mov_b32_e32 v4, 0x260
.LBB31_1168:                            ; =>This Inner Loop Header: Depth=1
	v_mul_hi_u32 v7, v6, s31
	v_add_f32_e32 v8, 1.0, v5
	s_add_i32 s30, s30, -2
	s_cmp_lg_u32 s30, 0
	v_lshrrev_b32_e32 v7, 15, v7
	v_mul_u32_u24_e32 v9, 0xadc8, v7
	v_sub_u32_e32 v6, v6, v9
	v_mul_lo_u32 v6, v6, s34
	v_mul_u32_u24_e32 v7, 0xd47, v7
	v_xor_b32_e32 v9, 0x7fffffff, v7
	v_sub_u32_e32 v48, 0, v7
	v_cmp_lt_u32_e32 vcc, v6, v7
	v_cndmask_b32_e32 v7, v48, v9, vcc
	v_add_u32_e32 v6, v7, v6
	v_mul_hi_u32 v9, v6, s31
	v_add_u32_e32 v7, -1, v6
	v_cvt_f32_u32_e32 v7, v7
	v_lshrrev_b32_e32 v9, 15, v9
	v_mul_u32_u24_e32 v48, 0xadc8, v9
	v_sub_u32_e32 v6, v6, v48
	v_mul_lo_u32 v6, v6, s34
	v_mul_u32_u24_e32 v9, 0xd47, v9
	v_xor_b32_e32 v48, 0x7fffffff, v9
	v_sub_u32_e32 v49, 0, v9
	v_cmp_lt_u32_e32 vcc, v6, v9
	v_cndmask_b32_e32 v9, v49, v48, vcc
	v_add_u32_e32 v6, v9, v6
	v_mul_hi_u32 v48, v6, s31
	v_add_u32_e32 v9, -1, v6
	v_cvt_f32_u32_e32 v9, v9
	v_fma_f32 v7, v7, s35, 0
	v_lshrrev_b32_e32 v48, 15, v48
	v_mul_u32_u24_e32 v49, 0xadc8, v48
	v_fma_f32 v9, v9, s35, 0
	v_sub_u32_e32 v6, v6, v49
	v_mul_f32_e32 v9, v9, v9
	v_mul_lo_u32 v6, v6, s34
	v_fmac_f32_e32 v9, v7, v7
	v_mul_f32_e32 v7, 0x4f800000, v9
	v_cmp_gt_f32_e32 vcc, s36, v9
	v_mul_u32_u24_e32 v48, 0xd47, v48
	v_cndmask_b32_e32 v7, v9, v7, vcc
	v_xor_b32_e32 v49, 0x7fffffff, v48
	v_sub_u32_e32 v50, 0, v48
	v_sqrt_f32_e32 v9, v7
	v_cmp_lt_u32_e64 s[92:93], v6, v48
	v_cndmask_b32_e64 v48, v50, v49, s[92:93]
	v_add_u32_e32 v6, v48, v6
	v_mul_hi_u32 v49, v6, s31
	v_add_u32_e32 v50, -1, v9
	v_add_u32_e32 v51, 1, v9
	v_fma_f32 v52, -v50, v9, v7
	v_fma_f32 v53, -v51, v9, v7
	v_cmp_ge_f32_e64 s[92:93], 0, v52
	v_cndmask_b32_e64 v9, v9, v50, s[92:93]
	v_cmp_lt_f32_e64 s[92:93], 0, v53
	v_lshrrev_b32_e32 v49, 15, v49
	v_cndmask_b32_e64 v9, v9, v51, s[92:93]
	v_mul_u32_u24_e32 v51, 0xadc8, v49
	v_add_u32_e32 v48, -1, v6
	v_sub_u32_e32 v6, v6, v51
	v_mul_f32_e32 v50, 0x37800000, v9
	v_mul_lo_u32 v6, v6, s34
	v_cndmask_b32_e32 v9, v9, v50, vcc
	v_cmp_class_f32_e32 vcc, v7, v4
	v_cndmask_b32_e32 v7, v9, v7, vcc
	v_mul_u32_u24_e32 v49, 0xd47, v49
	v_cmp_nge_f32_e32 vcc, 1.0, v7
	v_xor_b32_e32 v50, 0x7fffffff, v49
	v_sub_u32_e32 v51, 0, v49
	v_cndmask_b32_e32 v5, v8, v5, vcc
	v_cmp_lt_u32_e32 vcc, v6, v49
	v_cndmask_b32_e32 v8, v51, v50, vcc
	v_add_u32_e32 v6, v8, v6
	v_add_u32_e32 v8, -1, v6
	v_cvt_f32_u32_e32 v8, v8
	v_cvt_f32_u32_e32 v48, v48
	v_add_f32_e32 v7, 1.0, v5
	v_fma_f32 v8, v8, s35, 0
	v_fma_f32 v48, v48, s35, 0
	v_mul_f32_e32 v8, v8, v8
	v_fmac_f32_e32 v8, v48, v48
	v_mul_f32_e32 v9, 0x4f800000, v8
	v_cmp_gt_f32_e32 vcc, s36, v8
	v_cndmask_b32_e32 v8, v8, v9, vcc
	v_sqrt_f32_e32 v9, v8
	v_add_u32_e32 v48, -1, v9
	v_add_u32_e32 v49, 1, v9
	v_fma_f32 v50, -v48, v9, v8
	v_fma_f32 v51, -v49, v9, v8
	v_cmp_ge_f32_e64 s[92:93], 0, v50
	v_cndmask_b32_e64 v9, v9, v48, s[92:93]
	v_cmp_lt_f32_e64 s[92:93], 0, v51
	v_cndmask_b32_e64 v9, v9, v49, s[92:93]
	v_mul_f32_e32 v48, 0x37800000, v9
	v_cndmask_b32_e32 v9, v9, v48, vcc
	v_cmp_class_f32_e32 vcc, v8, v4
	v_cndmask_b32_e32 v8, v9, v8, vcc
	v_cmp_nge_f32_e32 vcc, 1.0, v8
	v_cndmask_b32_e32 v5, v7, v5, vcc
	s_cbranch_scc1 .LBB31_1168
; %bb.1169:
	v_mul_f32_e32 v4, 4.0, v5
	s_mov_b32 s30, 0x459c4000
	v_div_scale_f32 v5, s[92:93], s30, s30, v4
	v_div_scale_f32 v6, vcc, v4, s30, v4
	v_rcp_f32_e32 v7, v5
	v_fma_f32 v8, -v5, v7, 1.0
	v_fmac_f32_e32 v7, v8, v7
	v_mul_f32_e32 v8, v6, v7
	v_fma_f32 v9, -v5, v8, v6
	v_fmac_f32_e32 v8, v9, v7
	v_fma_f32 v5, -v5, v8, v6
	v_div_fmas_f32 v5, v5, v7, v8
	v_div_fixup_f32 v48, v5, s30, v4
.LBB31_1170:
	s_or_b64 exec, exec, s[94:95]
	v_add_u32_e32 v4, 0x1b00, v12
	v_cmp_lt_u32_e64 s[92:93], v4, v10
                                        ; implicit-def: $vgpr49
	s_and_saveexec_b64 s[30:31], s[92:93]
	s_cbranch_execz .LBB31_1180
; %bb.1171:
	v_add_u32_e32 v4, v13, v4
	s_movk_i32 s94, 0x1388
	v_mul_lo_u32 v4, v4, s94
	v_mov_b32_e32 v6, 1
	v_cmp_ne_u32_e32 vcc, 0, v4
	s_and_saveexec_b64 s[94:95], vcc
	s_cbranch_execz .LBB31_1177
; %bb.1172:
	v_mov_b32_e32 v5, 0
	v_mov_b32_e32 v8, 1
	;; [unrolled: 1-line block ×3, first 2 shown]
	s_mov_b64 s[36:37], 0xbc8f
	v_mov_b32_e32 v9, 0
	s_mov_b64 s[34:35], 0
	s_brev_b32 s52, -2
	v_mov_b32_e32 v6, v4
	s_branch .LBB31_1174
.LBB31_1173:                            ;   in Loop: Header=BB31_1174 Depth=1
	s_or_b64 exec, exec, s[38:39]
	s_mul_i32 vcc_lo, s36, s37
	s_mul_hi_u32 vcc_hi, s36, s36
	s_add_i32 vcc_hi, vcc_hi, vcc_lo
	s_add_i32 s37, vcc_hi, vcc_lo
	s_mul_i32 s36, s36, s36
	s_mul_i32 vcc_hi, s37, 3
	s_mul_hi_u32 s38, s36, 3
	s_mul_hi_u32 vcc_lo, s37, 3
	s_add_u32 vcc_hi, vcc_hi, s38
	s_addc_u32 vcc_lo, vcc_lo, 0
	s_mul_i32 s39, s36, 0x80000001
	s_mul_hi_u32 s38, s36, 0x80000001
	s_add_u32 vcc_hi, s39, vcc_hi
	s_addc_u32 vcc_hi, s38, 0
	s_add_u32 vcc_lo, vcc_lo, vcc_hi
	s_addc_u32 vcc_hi, 0, 0
	s_mul_i32 s39, s37, 0x80000001
	s_mul_hi_u32 s38, s37, 0x80000001
	s_add_u32 vcc_lo, s39, vcc_lo
	s_addc_u32 vcc_hi, s38, vcc_hi
	s_lshr_b32 s38, vcc_hi, 30
	s_lshr_b64 vcc, vcc, 30
	s_mul_i32 s38, s38, 0x7fffffff
	s_mul_hi_u32 vcc_hi, vcc_lo, 0x7fffffff
	v_lshrrev_b64 v[49:50], 1, v[6:7]
	s_add_i32 s38, vcc_hi, s38
	s_mul_i32 vcc_lo, vcc_lo, 0x7fffffff
	s_sub_u32 s36, s36, vcc_lo
	v_cmp_gt_u64_e32 vcc, 2, v[6:7]
	s_subb_u32 s37, s37, s38
	v_mov_b32_e32 v6, v49
	s_or_b64 s[34:35], vcc, s[34:35]
	v_mov_b32_e32 v7, v50
	s_andn2_b64 exec, exec, s[34:35]
	s_cbranch_execz .LBB31_1176
.LBB31_1174:                            ; =>This Inner Loop Header: Depth=1
	v_and_b32_e32 v4, 1, v6
	v_cmp_eq_u32_e32 vcc, 1, v4
	s_and_saveexec_b64 s[38:39], vcc
	s_cbranch_execz .LBB31_1173
; %bb.1175:                             ;   in Loop: Header=BB31_1174 Depth=1
	v_mad_u64_u32 v[49:50], vcc, s36, v8, 0
	v_mul_lo_u32 v8, s37, v8
	v_mul_lo_u32 v9, s36, v9
	v_mul_hi_u32 v4, v49, 5
	v_add3_u32 v52, v50, v9, v8
	v_mad_u64_u32 v[8:9], vcc, v52, 5, v[4:5]
	v_mov_b32_e32 v4, v8
	v_mad_u64_u32 v[50:51], vcc, v49, 2, v[4:5]
	v_add_co_u32_e32 v8, vcc, v9, v51
	v_addc_co_u32_e64 v9, vcc, 0, 0, vcc
	v_mad_u64_u32 v[8:9], vcc, v52, 2, v[8:9]
	v_sub_co_u32_e32 v50, vcc, v49, v8
	v_subb_co_u32_e32 v51, vcc, v52, v9, vcc
	v_lshrrev_b64 v[50:51], 1, v[50:51]
	v_add_co_u32_e32 v4, vcc, v50, v8
	v_addc_co_u32_e32 v50, vcc, v51, v9, vcc
	v_alignbit_b32 v4, v50, v4, 30
	v_mad_u64_u32 v[8:9], vcc, v4, s52, 0
	v_lshrrev_b32_e32 v50, 30, v50
	v_mov_b32_e32 v4, v9
	v_mad_u64_u32 v[50:51], vcc, v50, s52, v[4:5]
	v_sub_co_u32_e32 v8, vcc, v49, v8
	v_subb_co_u32_e32 v9, vcc, v52, v50, vcc
	s_branch .LBB31_1173
.LBB31_1176:
	s_or_b64 exec, exec, s[34:35]
	v_add_u32_e32 v4, 0x80000001, v8
	v_min_u32_e32 v4, v4, v8
	v_add_u32_e32 v5, 0x80000001, v4
	v_min_u32_e32 v6, v5, v4
.LBB31_1177:
	s_or_b64 exec, exec, s[94:95]
	v_mov_b32_e32 v5, 0
	s_movk_i32 s34, 0x1388
	s_mov_b32 s35, 0xbc8f1391
	s_mov_b32 s36, 0xbc8f
	s_brev_b32 s37, 12
	s_mov_b32 s38, 0xf800000
	v_mov_b32_e32 v4, 0x260
.LBB31_1178:                            ; =>This Inner Loop Header: Depth=1
	v_mul_hi_u32 v7, v6, s35
	v_add_f32_e32 v8, 1.0, v5
	s_add_i32 s34, s34, -2
	s_cmp_lg_u32 s34, 0
	v_lshrrev_b32_e32 v7, 15, v7
	v_mul_u32_u24_e32 v9, 0xadc8, v7
	v_sub_u32_e32 v6, v6, v9
	v_mul_lo_u32 v6, v6, s36
	v_mul_u32_u24_e32 v7, 0xd47, v7
	v_xor_b32_e32 v9, 0x7fffffff, v7
	v_sub_u32_e32 v49, 0, v7
	v_cmp_lt_u32_e32 vcc, v6, v7
	v_cndmask_b32_e32 v7, v49, v9, vcc
	v_add_u32_e32 v6, v7, v6
	v_mul_hi_u32 v9, v6, s35
	v_add_u32_e32 v7, -1, v6
	v_cvt_f32_u32_e32 v7, v7
	v_lshrrev_b32_e32 v9, 15, v9
	v_mul_u32_u24_e32 v49, 0xadc8, v9
	v_sub_u32_e32 v6, v6, v49
	v_mul_lo_u32 v6, v6, s36
	v_mul_u32_u24_e32 v9, 0xd47, v9
	v_xor_b32_e32 v49, 0x7fffffff, v9
	v_sub_u32_e32 v50, 0, v9
	v_cmp_lt_u32_e32 vcc, v6, v9
	v_cndmask_b32_e32 v9, v50, v49, vcc
	v_add_u32_e32 v6, v9, v6
	v_mul_hi_u32 v49, v6, s35
	v_add_u32_e32 v9, -1, v6
	v_cvt_f32_u32_e32 v9, v9
	v_fma_f32 v7, v7, s37, 0
	v_lshrrev_b32_e32 v49, 15, v49
	v_mul_u32_u24_e32 v50, 0xadc8, v49
	v_fma_f32 v9, v9, s37, 0
	v_sub_u32_e32 v6, v6, v50
	v_mul_f32_e32 v9, v9, v9
	v_mul_lo_u32 v6, v6, s36
	v_fmac_f32_e32 v9, v7, v7
	v_mul_f32_e32 v7, 0x4f800000, v9
	v_cmp_gt_f32_e32 vcc, s38, v9
	v_mul_u32_u24_e32 v49, 0xd47, v49
	v_cndmask_b32_e32 v7, v9, v7, vcc
	v_xor_b32_e32 v50, 0x7fffffff, v49
	v_sub_u32_e32 v51, 0, v49
	v_sqrt_f32_e32 v9, v7
	v_cmp_lt_u32_e64 s[94:95], v6, v49
	v_cndmask_b32_e64 v49, v51, v50, s[94:95]
	v_add_u32_e32 v6, v49, v6
	v_mul_hi_u32 v50, v6, s35
	v_add_u32_e32 v51, -1, v9
	v_add_u32_e32 v52, 1, v9
	v_fma_f32 v53, -v51, v9, v7
	v_fma_f32 v54, -v52, v9, v7
	v_cmp_ge_f32_e64 s[94:95], 0, v53
	v_cndmask_b32_e64 v9, v9, v51, s[94:95]
	v_cmp_lt_f32_e64 s[94:95], 0, v54
	v_lshrrev_b32_e32 v50, 15, v50
	v_cndmask_b32_e64 v9, v9, v52, s[94:95]
	v_mul_u32_u24_e32 v52, 0xadc8, v50
	v_add_u32_e32 v49, -1, v6
	v_sub_u32_e32 v6, v6, v52
	v_mul_f32_e32 v51, 0x37800000, v9
	v_mul_lo_u32 v6, v6, s36
	v_cndmask_b32_e32 v9, v9, v51, vcc
	v_cmp_class_f32_e32 vcc, v7, v4
	v_cndmask_b32_e32 v7, v9, v7, vcc
	v_mul_u32_u24_e32 v50, 0xd47, v50
	v_cmp_nge_f32_e32 vcc, 1.0, v7
	v_xor_b32_e32 v51, 0x7fffffff, v50
	v_sub_u32_e32 v52, 0, v50
	v_cndmask_b32_e32 v5, v8, v5, vcc
	v_cmp_lt_u32_e32 vcc, v6, v50
	v_cndmask_b32_e32 v8, v52, v51, vcc
	v_add_u32_e32 v6, v8, v6
	v_add_u32_e32 v8, -1, v6
	v_cvt_f32_u32_e32 v8, v8
	v_cvt_f32_u32_e32 v49, v49
	v_add_f32_e32 v7, 1.0, v5
	v_fma_f32 v8, v8, s37, 0
	v_fma_f32 v49, v49, s37, 0
	v_mul_f32_e32 v8, v8, v8
	v_fmac_f32_e32 v8, v49, v49
	v_mul_f32_e32 v9, 0x4f800000, v8
	v_cmp_gt_f32_e32 vcc, s38, v8
	v_cndmask_b32_e32 v8, v8, v9, vcc
	v_sqrt_f32_e32 v9, v8
	v_add_u32_e32 v49, -1, v9
	v_add_u32_e32 v50, 1, v9
	v_fma_f32 v51, -v49, v9, v8
	v_fma_f32 v52, -v50, v9, v8
	v_cmp_ge_f32_e64 s[94:95], 0, v51
	v_cndmask_b32_e64 v9, v9, v49, s[94:95]
	v_cmp_lt_f32_e64 s[94:95], 0, v52
	v_cndmask_b32_e64 v9, v9, v50, s[94:95]
	v_mul_f32_e32 v49, 0x37800000, v9
	v_cndmask_b32_e32 v9, v9, v49, vcc
	v_cmp_class_f32_e32 vcc, v8, v4
	v_cndmask_b32_e32 v8, v9, v8, vcc
	v_cmp_nge_f32_e32 vcc, 1.0, v8
	v_cndmask_b32_e32 v5, v7, v5, vcc
	s_cbranch_scc1 .LBB31_1178
; %bb.1179:
	v_mul_f32_e32 v4, 4.0, v5
	s_mov_b32 s34, 0x459c4000
	v_div_scale_f32 v5, s[94:95], s34, s34, v4
	v_div_scale_f32 v6, vcc, v4, s34, v4
	v_rcp_f32_e32 v7, v5
	v_fma_f32 v8, -v5, v7, 1.0
	v_fmac_f32_e32 v7, v8, v7
	v_mul_f32_e32 v8, v6, v7
	v_fma_f32 v9, -v5, v8, v6
	v_fmac_f32_e32 v8, v9, v7
	v_fma_f32 v5, -v5, v8, v6
	v_div_fmas_f32 v5, v5, v7, v8
	v_div_fixup_f32 v49, v5, s34, v4
.LBB31_1180:
	s_or_b64 exec, exec, s[30:31]
	v_or_b32_e32 v4, 0x1c00, v12
	v_cmp_lt_u32_e64 s[94:95], v4, v10
                                        ; implicit-def: $vgpr50
	s_and_saveexec_b64 s[34:35], s[94:95]
	s_cbranch_execz .LBB31_1190
; %bb.1181:
	v_add_u32_e32 v4, v13, v4
	s_movk_i32 vcc_lo, 0x1388
	v_mul_lo_u32 v4, v4, vcc_lo
	v_mov_b32_e32 v6, 1
	v_cmp_ne_u32_e32 vcc, 0, v4
	s_and_saveexec_b64 s[30:31], vcc
	s_cbranch_execz .LBB31_1187
; %bb.1182:
	v_mov_b32_e32 v5, 0
	v_mov_b32_e32 v8, 1
	;; [unrolled: 1-line block ×3, first 2 shown]
	s_mov_b64 s[38:39], 0xbc8f
	v_mov_b32_e32 v9, 0
	s_mov_b64 s[36:37], 0
	s_brev_b32 s54, -2
	v_mov_b32_e32 v6, v4
	s_branch .LBB31_1184
.LBB31_1183:                            ;   in Loop: Header=BB31_1184 Depth=1
	s_or_b64 exec, exec, s[52:53]
	s_mul_i32 vcc_lo, s38, s39
	s_mul_hi_u32 vcc_hi, s38, s38
	s_add_i32 vcc_hi, vcc_hi, vcc_lo
	s_add_i32 s39, vcc_hi, vcc_lo
	s_mul_i32 s38, s38, s38
	s_mul_i32 vcc_hi, s39, 3
	s_mul_hi_u32 s52, s38, 3
	s_mul_hi_u32 vcc_lo, s39, 3
	s_add_u32 vcc_hi, vcc_hi, s52
	s_addc_u32 vcc_lo, vcc_lo, 0
	s_mul_i32 s53, s38, 0x80000001
	s_mul_hi_u32 s52, s38, 0x80000001
	s_add_u32 vcc_hi, s53, vcc_hi
	s_addc_u32 vcc_hi, s52, 0
	s_add_u32 vcc_lo, vcc_lo, vcc_hi
	s_addc_u32 vcc_hi, 0, 0
	s_mul_i32 s53, s39, 0x80000001
	s_mul_hi_u32 s52, s39, 0x80000001
	s_add_u32 vcc_lo, s53, vcc_lo
	s_addc_u32 vcc_hi, s52, vcc_hi
	s_lshr_b32 s52, vcc_hi, 30
	s_lshr_b64 vcc, vcc, 30
	s_mul_i32 s52, s52, 0x7fffffff
	s_mul_hi_u32 vcc_hi, vcc_lo, 0x7fffffff
	v_lshrrev_b64 v[50:51], 1, v[6:7]
	s_add_i32 s52, vcc_hi, s52
	s_mul_i32 vcc_lo, vcc_lo, 0x7fffffff
	s_sub_u32 s38, s38, vcc_lo
	v_cmp_gt_u64_e32 vcc, 2, v[6:7]
	s_subb_u32 s39, s39, s52
	v_mov_b32_e32 v6, v50
	s_or_b64 s[36:37], vcc, s[36:37]
	v_mov_b32_e32 v7, v51
	s_andn2_b64 exec, exec, s[36:37]
	s_cbranch_execz .LBB31_1186
.LBB31_1184:                            ; =>This Inner Loop Header: Depth=1
	v_and_b32_e32 v4, 1, v6
	v_cmp_eq_u32_e32 vcc, 1, v4
	s_and_saveexec_b64 s[52:53], vcc
	s_cbranch_execz .LBB31_1183
; %bb.1185:                             ;   in Loop: Header=BB31_1184 Depth=1
	v_mad_u64_u32 v[50:51], vcc, s38, v8, 0
	v_mul_lo_u32 v8, s39, v8
	v_mul_lo_u32 v9, s38, v9
	v_mul_hi_u32 v4, v50, 5
	v_add3_u32 v53, v51, v9, v8
	v_mad_u64_u32 v[8:9], vcc, v53, 5, v[4:5]
	v_mov_b32_e32 v4, v8
	v_mad_u64_u32 v[51:52], vcc, v50, 2, v[4:5]
	v_add_co_u32_e32 v8, vcc, v9, v52
	v_addc_co_u32_e64 v9, vcc, 0, 0, vcc
	v_mad_u64_u32 v[8:9], vcc, v53, 2, v[8:9]
	v_sub_co_u32_e32 v51, vcc, v50, v8
	v_subb_co_u32_e32 v52, vcc, v53, v9, vcc
	v_lshrrev_b64 v[51:52], 1, v[51:52]
	v_add_co_u32_e32 v4, vcc, v51, v8
	v_addc_co_u32_e32 v51, vcc, v52, v9, vcc
	v_alignbit_b32 v4, v51, v4, 30
	v_mad_u64_u32 v[8:9], vcc, v4, s54, 0
	v_lshrrev_b32_e32 v51, 30, v51
	v_mov_b32_e32 v4, v9
	v_mad_u64_u32 v[51:52], vcc, v51, s54, v[4:5]
	v_sub_co_u32_e32 v8, vcc, v50, v8
	v_subb_co_u32_e32 v9, vcc, v53, v51, vcc
	s_branch .LBB31_1183
.LBB31_1186:
	s_or_b64 exec, exec, s[36:37]
	v_add_u32_e32 v4, 0x80000001, v8
	v_min_u32_e32 v4, v4, v8
	v_add_u32_e32 v5, 0x80000001, v4
	v_min_u32_e32 v6, v5, v4
.LBB31_1187:
	s_or_b64 exec, exec, s[30:31]
	v_mov_b32_e32 v5, 0
	s_movk_i32 s36, 0x1388
	s_mov_b32 s37, 0xbc8f1391
	s_mov_b32 s38, 0xbc8f
	s_brev_b32 s39, 12
	s_mov_b32 s52, 0xf800000
	v_mov_b32_e32 v4, 0x260
.LBB31_1188:                            ; =>This Inner Loop Header: Depth=1
	v_mul_hi_u32 v7, v6, s37
	v_add_f32_e32 v8, 1.0, v5
	s_add_i32 s36, s36, -2
	s_cmp_lg_u32 s36, 0
	v_lshrrev_b32_e32 v7, 15, v7
	v_mul_u32_u24_e32 v9, 0xadc8, v7
	v_sub_u32_e32 v6, v6, v9
	v_mul_lo_u32 v6, v6, s38
	v_mul_u32_u24_e32 v7, 0xd47, v7
	v_xor_b32_e32 v9, 0x7fffffff, v7
	v_sub_u32_e32 v50, 0, v7
	v_cmp_lt_u32_e32 vcc, v6, v7
	v_cndmask_b32_e32 v7, v50, v9, vcc
	v_add_u32_e32 v6, v7, v6
	v_mul_hi_u32 v9, v6, s37
	v_add_u32_e32 v7, -1, v6
	v_cvt_f32_u32_e32 v7, v7
	v_lshrrev_b32_e32 v9, 15, v9
	v_mul_u32_u24_e32 v50, 0xadc8, v9
	v_sub_u32_e32 v6, v6, v50
	v_mul_lo_u32 v6, v6, s38
	v_mul_u32_u24_e32 v9, 0xd47, v9
	v_xor_b32_e32 v50, 0x7fffffff, v9
	v_sub_u32_e32 v51, 0, v9
	v_cmp_lt_u32_e32 vcc, v6, v9
	v_cndmask_b32_e32 v9, v51, v50, vcc
	v_add_u32_e32 v6, v9, v6
	v_mul_hi_u32 v50, v6, s37
	v_add_u32_e32 v9, -1, v6
	v_cvt_f32_u32_e32 v9, v9
	v_fma_f32 v7, v7, s39, 0
	v_lshrrev_b32_e32 v50, 15, v50
	v_mul_u32_u24_e32 v51, 0xadc8, v50
	v_fma_f32 v9, v9, s39, 0
	v_sub_u32_e32 v6, v6, v51
	v_mul_f32_e32 v9, v9, v9
	v_mul_lo_u32 v6, v6, s38
	v_fmac_f32_e32 v9, v7, v7
	v_mul_f32_e32 v7, 0x4f800000, v9
	v_cmp_gt_f32_e32 vcc, s52, v9
	v_mul_u32_u24_e32 v50, 0xd47, v50
	v_cndmask_b32_e32 v7, v9, v7, vcc
	v_xor_b32_e32 v51, 0x7fffffff, v50
	v_sub_u32_e32 v52, 0, v50
	v_sqrt_f32_e32 v9, v7
	v_cmp_lt_u32_e64 s[30:31], v6, v50
	v_cndmask_b32_e64 v50, v52, v51, s[30:31]
	v_add_u32_e32 v6, v50, v6
	v_mul_hi_u32 v51, v6, s37
	v_add_u32_e32 v52, -1, v9
	v_add_u32_e32 v53, 1, v9
	v_fma_f32 v54, -v52, v9, v7
	v_fma_f32 v55, -v53, v9, v7
	v_cmp_ge_f32_e64 s[30:31], 0, v54
	v_cndmask_b32_e64 v9, v9, v52, s[30:31]
	v_cmp_lt_f32_e64 s[30:31], 0, v55
	v_lshrrev_b32_e32 v51, 15, v51
	v_cndmask_b32_e64 v9, v9, v53, s[30:31]
	v_mul_u32_u24_e32 v53, 0xadc8, v51
	v_add_u32_e32 v50, -1, v6
	v_sub_u32_e32 v6, v6, v53
	v_mul_f32_e32 v52, 0x37800000, v9
	v_mul_lo_u32 v6, v6, s38
	v_cndmask_b32_e32 v9, v9, v52, vcc
	v_cmp_class_f32_e32 vcc, v7, v4
	v_cndmask_b32_e32 v7, v9, v7, vcc
	v_mul_u32_u24_e32 v51, 0xd47, v51
	v_cmp_nge_f32_e32 vcc, 1.0, v7
	v_xor_b32_e32 v52, 0x7fffffff, v51
	v_sub_u32_e32 v53, 0, v51
	v_cndmask_b32_e32 v5, v8, v5, vcc
	v_cmp_lt_u32_e32 vcc, v6, v51
	v_cndmask_b32_e32 v8, v53, v52, vcc
	v_add_u32_e32 v6, v8, v6
	v_add_u32_e32 v8, -1, v6
	v_cvt_f32_u32_e32 v8, v8
	v_cvt_f32_u32_e32 v50, v50
	v_add_f32_e32 v7, 1.0, v5
	v_fma_f32 v8, v8, s39, 0
	v_fma_f32 v50, v50, s39, 0
	v_mul_f32_e32 v8, v8, v8
	v_fmac_f32_e32 v8, v50, v50
	v_mul_f32_e32 v9, 0x4f800000, v8
	v_cmp_gt_f32_e32 vcc, s52, v8
	v_cndmask_b32_e32 v8, v8, v9, vcc
	v_sqrt_f32_e32 v9, v8
	v_add_u32_e32 v50, -1, v9
	v_add_u32_e32 v51, 1, v9
	v_fma_f32 v52, -v50, v9, v8
	v_fma_f32 v53, -v51, v9, v8
	v_cmp_ge_f32_e64 s[30:31], 0, v52
	v_cndmask_b32_e64 v9, v9, v50, s[30:31]
	v_cmp_lt_f32_e64 s[30:31], 0, v53
	v_cndmask_b32_e64 v9, v9, v51, s[30:31]
	v_mul_f32_e32 v50, 0x37800000, v9
	v_cndmask_b32_e32 v9, v9, v50, vcc
	v_cmp_class_f32_e32 vcc, v8, v4
	v_cndmask_b32_e32 v8, v9, v8, vcc
	v_cmp_nge_f32_e32 vcc, 1.0, v8
	v_cndmask_b32_e32 v5, v7, v5, vcc
	s_cbranch_scc1 .LBB31_1188
; %bb.1189:
	v_mul_f32_e32 v4, 4.0, v5
	s_mov_b32 s30, 0x459c4000
	v_div_scale_f32 v5, vcc, s30, s30, v4
	v_div_scale_f32 v6, vcc, v4, s30, v4
	v_rcp_f32_e32 v7, v5
	v_fma_f32 v8, -v5, v7, 1.0
	v_fmac_f32_e32 v7, v8, v7
	v_mul_f32_e32 v8, v6, v7
	v_fma_f32 v9, -v5, v8, v6
	v_fmac_f32_e32 v8, v9, v7
	v_fma_f32 v5, -v5, v8, v6
	v_div_fmas_f32 v5, v5, v7, v8
	v_div_fixup_f32 v50, v5, s30, v4
.LBB31_1190:
	s_or_b64 exec, exec, s[34:35]
	v_add_u32_e32 v4, 0x1d00, v12
	v_cmp_lt_u32_e64 s[30:31], v4, v10
                                        ; implicit-def: $vgpr51
	s_and_saveexec_b64 s[36:37], s[30:31]
	s_cbranch_execz .LBB31_1200
; %bb.1191:
	v_add_u32_e32 v4, v13, v4
	s_movk_i32 vcc_lo, 0x1388
	v_mul_lo_u32 v4, v4, vcc_lo
	v_mov_b32_e32 v6, 1
	v_cmp_ne_u32_e32 vcc, 0, v4
	s_and_saveexec_b64 s[34:35], vcc
	s_cbranch_execz .LBB31_1197
; %bb.1192:
	v_mov_b32_e32 v5, 0
	v_mov_b32_e32 v8, 1
	v_mov_b32_e32 v7, v5
	s_mov_b64 s[52:53], 0xbc8f
	v_mov_b32_e32 v9, 0
	s_mov_b64 s[38:39], 0
	s_brev_b32 s64, -2
	v_mov_b32_e32 v6, v4
	s_branch .LBB31_1194
.LBB31_1193:                            ;   in Loop: Header=BB31_1194 Depth=1
	s_or_b64 exec, exec, s[54:55]
	s_mul_i32 vcc_lo, s52, s53
	s_mul_hi_u32 vcc_hi, s52, s52
	s_add_i32 vcc_hi, vcc_hi, vcc_lo
	s_add_i32 s53, vcc_hi, vcc_lo
	s_mul_i32 s52, s52, s52
	s_mul_i32 vcc_hi, s53, 3
	s_mul_hi_u32 s54, s52, 3
	s_mul_hi_u32 vcc_lo, s53, 3
	s_add_u32 vcc_hi, vcc_hi, s54
	s_addc_u32 vcc_lo, vcc_lo, 0
	s_mul_i32 s55, s52, 0x80000001
	s_mul_hi_u32 s54, s52, 0x80000001
	s_add_u32 vcc_hi, s55, vcc_hi
	s_addc_u32 vcc_hi, s54, 0
	s_add_u32 vcc_lo, vcc_lo, vcc_hi
	s_addc_u32 vcc_hi, 0, 0
	s_mul_i32 s55, s53, 0x80000001
	s_mul_hi_u32 s54, s53, 0x80000001
	s_add_u32 vcc_lo, s55, vcc_lo
	s_addc_u32 vcc_hi, s54, vcc_hi
	s_lshr_b32 s54, vcc_hi, 30
	s_lshr_b64 vcc, vcc, 30
	s_mul_i32 s54, s54, 0x7fffffff
	s_mul_hi_u32 vcc_hi, vcc_lo, 0x7fffffff
	v_lshrrev_b64 v[51:52], 1, v[6:7]
	s_add_i32 s54, vcc_hi, s54
	s_mul_i32 vcc_lo, vcc_lo, 0x7fffffff
	s_sub_u32 s52, s52, vcc_lo
	v_cmp_gt_u64_e32 vcc, 2, v[6:7]
	s_subb_u32 s53, s53, s54
	v_mov_b32_e32 v6, v51
	s_or_b64 s[38:39], vcc, s[38:39]
	v_mov_b32_e32 v7, v52
	s_andn2_b64 exec, exec, s[38:39]
	s_cbranch_execz .LBB31_1196
.LBB31_1194:                            ; =>This Inner Loop Header: Depth=1
	v_and_b32_e32 v4, 1, v6
	v_cmp_eq_u32_e32 vcc, 1, v4
	s_and_saveexec_b64 s[54:55], vcc
	s_cbranch_execz .LBB31_1193
; %bb.1195:                             ;   in Loop: Header=BB31_1194 Depth=1
	v_mad_u64_u32 v[51:52], vcc, s52, v8, 0
	v_mul_lo_u32 v8, s53, v8
	v_mul_lo_u32 v9, s52, v9
	v_mul_hi_u32 v4, v51, 5
	v_add3_u32 v54, v52, v9, v8
	v_mad_u64_u32 v[8:9], vcc, v54, 5, v[4:5]
	v_mov_b32_e32 v4, v8
	v_mad_u64_u32 v[52:53], vcc, v51, 2, v[4:5]
	v_add_co_u32_e32 v8, vcc, v9, v53
	v_addc_co_u32_e64 v9, vcc, 0, 0, vcc
	v_mad_u64_u32 v[8:9], vcc, v54, 2, v[8:9]
	v_sub_co_u32_e32 v52, vcc, v51, v8
	v_subb_co_u32_e32 v53, vcc, v54, v9, vcc
	v_lshrrev_b64 v[52:53], 1, v[52:53]
	v_add_co_u32_e32 v4, vcc, v52, v8
	v_addc_co_u32_e32 v52, vcc, v53, v9, vcc
	v_alignbit_b32 v4, v52, v4, 30
	v_mad_u64_u32 v[8:9], vcc, v4, s64, 0
	v_lshrrev_b32_e32 v52, 30, v52
	v_mov_b32_e32 v4, v9
	v_mad_u64_u32 v[52:53], vcc, v52, s64, v[4:5]
	v_sub_co_u32_e32 v8, vcc, v51, v8
	v_subb_co_u32_e32 v9, vcc, v54, v52, vcc
	s_branch .LBB31_1193
.LBB31_1196:
	s_or_b64 exec, exec, s[38:39]
	v_add_u32_e32 v4, 0x80000001, v8
	v_min_u32_e32 v4, v4, v8
	v_add_u32_e32 v5, 0x80000001, v4
	v_min_u32_e32 v6, v5, v4
.LBB31_1197:
	s_or_b64 exec, exec, s[34:35]
	v_mov_b32_e32 v5, 0
	s_movk_i32 s38, 0x1388
	s_mov_b32 s39, 0xbc8f1391
	s_mov_b32 s52, 0xbc8f
	s_brev_b32 s53, 12
	s_mov_b32 s54, 0xf800000
	v_mov_b32_e32 v4, 0x260
.LBB31_1198:                            ; =>This Inner Loop Header: Depth=1
	v_mul_hi_u32 v7, v6, s39
	s_add_i32 s38, s38, -2
	s_cmp_lg_u32 s38, 0
	v_lshrrev_b32_e32 v7, 15, v7
	v_mul_u32_u24_e32 v8, 0xadc8, v7
	v_sub_u32_e32 v6, v6, v8
	v_mul_lo_u32 v6, v6, s52
	v_mul_u32_u24_e32 v7, 0xd47, v7
	v_xor_b32_e32 v8, 0x7fffffff, v7
	v_cmp_lt_u32_e32 vcc, v6, v7
	v_sub_u32_e32 v7, 0, v7
	v_cndmask_b32_e32 v7, v7, v8, vcc
	v_add_u32_e32 v6, v7, v6
	v_mul_hi_u32 v8, v6, s39
	v_add_u32_e32 v7, -1, v6
	v_cvt_f32_u32_e32 v7, v7
	v_lshrrev_b32_e32 v8, 15, v8
	v_mul_u32_u24_e32 v9, 0xadc8, v8
	v_sub_u32_e32 v6, v6, v9
	v_mul_lo_u32 v6, v6, s52
	v_mul_u32_u24_e32 v8, 0xd47, v8
	v_xor_b32_e32 v9, 0x7fffffff, v8
	v_fma_f32 v7, v7, s53, 0
	v_cmp_lt_u32_e32 vcc, v6, v8
	v_sub_u32_e32 v8, 0, v8
	v_cndmask_b32_e32 v8, v8, v9, vcc
	v_add_u32_e32 v6, v8, v6
	v_add_u32_e32 v8, -1, v6
	v_cvt_f32_u32_e32 v8, v8
	v_fma_f32 v8, v8, s53, 0
	v_mul_f32_e32 v8, v8, v8
	v_fmac_f32_e32 v8, v7, v7
	v_cmp_gt_f32_e32 vcc, s54, v8
	v_mul_f32_e32 v7, 0x4f800000, v8
	v_cndmask_b32_e32 v7, v8, v7, vcc
	v_sqrt_f32_e32 v8, v7
	v_add_u32_e32 v9, -1, v8
	v_fma_f32 v51, -v9, v8, v7
	v_cmp_ge_f32_e64 s[34:35], 0, v51
	v_add_u32_e32 v51, 1, v8
	v_cndmask_b32_e64 v9, v8, v9, s[34:35]
	v_fma_f32 v8, -v51, v8, v7
	v_cmp_lt_f32_e64 s[34:35], 0, v8
	v_cndmask_b32_e64 v8, v9, v51, s[34:35]
	v_mul_f32_e32 v9, 0x37800000, v8
	v_cndmask_b32_e32 v8, v8, v9, vcc
	v_cmp_class_f32_e32 vcc, v7, v4
	v_cndmask_b32_e32 v7, v8, v7, vcc
	v_cmp_nge_f32_e32 vcc, 1.0, v7
	v_add_f32_e32 v7, 1.0, v5
	v_cndmask_b32_e32 v5, v7, v5, vcc
	v_mul_hi_u32 v7, v6, s39
	v_lshrrev_b32_e32 v7, 15, v7
	v_mul_u32_u24_e32 v8, 0xadc8, v7
	v_sub_u32_e32 v6, v6, v8
	v_mul_lo_u32 v6, v6, s52
	v_mul_u32_u24_e32 v7, 0xd47, v7
	v_xor_b32_e32 v8, 0x7fffffff, v7
	v_cmp_lt_u32_e32 vcc, v6, v7
	v_sub_u32_e32 v7, 0, v7
	v_cndmask_b32_e32 v7, v7, v8, vcc
	v_add_u32_e32 v6, v7, v6
	v_mul_hi_u32 v8, v6, s39
	v_add_u32_e32 v7, -1, v6
	v_cvt_f32_u32_e32 v7, v7
	v_lshrrev_b32_e32 v8, 15, v8
	v_mul_u32_u24_e32 v9, 0xadc8, v8
	v_sub_u32_e32 v6, v6, v9
	v_mul_lo_u32 v6, v6, s52
	v_mul_u32_u24_e32 v8, 0xd47, v8
	v_xor_b32_e32 v9, 0x7fffffff, v8
	v_fma_f32 v7, v7, s53, 0
	v_cmp_lt_u32_e32 vcc, v6, v8
	v_sub_u32_e32 v8, 0, v8
	v_cndmask_b32_e32 v8, v8, v9, vcc
	v_add_u32_e32 v6, v8, v6
	v_add_u32_e32 v8, -1, v6
	v_cvt_f32_u32_e32 v8, v8
	v_fma_f32 v8, v8, s53, 0
	v_mul_f32_e32 v8, v8, v8
	v_fmac_f32_e32 v8, v7, v7
	v_cmp_gt_f32_e32 vcc, s54, v8
	v_mul_f32_e32 v7, 0x4f800000, v8
	v_cndmask_b32_e32 v7, v8, v7, vcc
	v_sqrt_f32_e32 v8, v7
	v_add_u32_e32 v9, -1, v8
	v_fma_f32 v51, -v9, v8, v7
	v_cmp_ge_f32_e64 s[34:35], 0, v51
	v_add_u32_e32 v51, 1, v8
	v_cndmask_b32_e64 v9, v8, v9, s[34:35]
	v_fma_f32 v8, -v51, v8, v7
	v_cmp_lt_f32_e64 s[34:35], 0, v8
	v_cndmask_b32_e64 v8, v9, v51, s[34:35]
	v_mul_f32_e32 v9, 0x37800000, v8
	v_cndmask_b32_e32 v8, v8, v9, vcc
	v_cmp_class_f32_e32 vcc, v7, v4
	v_cndmask_b32_e32 v7, v8, v7, vcc
	v_cmp_nge_f32_e32 vcc, 1.0, v7
	v_add_f32_e32 v7, 1.0, v5
	v_cndmask_b32_e32 v5, v7, v5, vcc
	s_cbranch_scc1 .LBB31_1198
; %bb.1199:
	v_mul_f32_e32 v4, 4.0, v5
	s_mov_b32 s34, 0x459c4000
	v_div_scale_f32 v5, vcc, s34, s34, v4
	v_div_scale_f32 v6, vcc, v4, s34, v4
	v_rcp_f32_e32 v7, v5
	v_fma_f32 v8, -v5, v7, 1.0
	v_fmac_f32_e32 v7, v8, v7
	v_mul_f32_e32 v8, v6, v7
	v_fma_f32 v9, -v5, v8, v6
	v_fmac_f32_e32 v8, v9, v7
	v_fma_f32 v5, -v5, v8, v6
	v_div_fmas_f32 v5, v5, v7, v8
	v_div_fixup_f32 v51, v5, s34, v4
.LBB31_1200:
	s_or_b64 exec, exec, s[36:37]
	v_add_u32_e32 v4, 0x1e00, v12
	v_cmp_lt_u32_e64 s[34:35], v4, v10
                                        ; implicit-def: $vgpr52
	s_and_saveexec_b64 s[38:39], s[34:35]
	s_cbranch_execz .LBB31_1210
; %bb.1201:
	v_add_u32_e32 v4, v13, v4
	s_movk_i32 vcc_lo, 0x1388
	v_mul_lo_u32 v4, v4, vcc_lo
	v_mov_b32_e32 v6, 1
	v_cmp_ne_u32_e32 vcc, 0, v4
	s_and_saveexec_b64 s[36:37], vcc
	s_cbranch_execz .LBB31_1207
; %bb.1202:
	v_mov_b32_e32 v5, 0
	v_mov_b32_e32 v8, 1
	;; [unrolled: 1-line block ×3, first 2 shown]
	s_mov_b64 s[54:55], 0xbc8f
	v_mov_b32_e32 v9, 0
	s_mov_b64 s[52:53], 0
	s_brev_b32 s66, -2
	v_mov_b32_e32 v6, v4
	s_branch .LBB31_1204
.LBB31_1203:                            ;   in Loop: Header=BB31_1204 Depth=1
	s_or_b64 exec, exec, s[64:65]
	s_mul_i32 vcc_lo, s54, s55
	s_mul_hi_u32 vcc_hi, s54, s54
	s_add_i32 vcc_hi, vcc_hi, vcc_lo
	s_add_i32 s55, vcc_hi, vcc_lo
	s_mul_i32 s54, s54, s54
	s_mul_i32 vcc_hi, s55, 3
	s_mul_hi_u32 s64, s54, 3
	s_mul_hi_u32 vcc_lo, s55, 3
	s_add_u32 vcc_hi, vcc_hi, s64
	s_addc_u32 vcc_lo, vcc_lo, 0
	s_mul_i32 s65, s54, 0x80000001
	s_mul_hi_u32 s64, s54, 0x80000001
	s_add_u32 vcc_hi, s65, vcc_hi
	s_addc_u32 vcc_hi, s64, 0
	s_add_u32 vcc_lo, vcc_lo, vcc_hi
	s_addc_u32 vcc_hi, 0, 0
	s_mul_i32 s65, s55, 0x80000001
	s_mul_hi_u32 s64, s55, 0x80000001
	s_add_u32 vcc_lo, s65, vcc_lo
	s_addc_u32 vcc_hi, s64, vcc_hi
	s_lshr_b32 s64, vcc_hi, 30
	s_lshr_b64 vcc, vcc, 30
	s_mul_i32 s64, s64, 0x7fffffff
	s_mul_hi_u32 vcc_hi, vcc_lo, 0x7fffffff
	v_lshrrev_b64 v[52:53], 1, v[6:7]
	s_add_i32 s64, vcc_hi, s64
	s_mul_i32 vcc_lo, vcc_lo, 0x7fffffff
	s_sub_u32 s54, s54, vcc_lo
	v_cmp_gt_u64_e32 vcc, 2, v[6:7]
	s_subb_u32 s55, s55, s64
	v_mov_b32_e32 v6, v52
	s_or_b64 s[52:53], vcc, s[52:53]
	v_mov_b32_e32 v7, v53
	s_andn2_b64 exec, exec, s[52:53]
	s_cbranch_execz .LBB31_1206
.LBB31_1204:                            ; =>This Inner Loop Header: Depth=1
	v_and_b32_e32 v4, 1, v6
	v_cmp_eq_u32_e32 vcc, 1, v4
	s_and_saveexec_b64 s[64:65], vcc
	s_cbranch_execz .LBB31_1203
; %bb.1205:                             ;   in Loop: Header=BB31_1204 Depth=1
	v_mad_u64_u32 v[52:53], vcc, s54, v8, 0
	v_mul_lo_u32 v8, s55, v8
	v_mul_lo_u32 v9, s54, v9
	v_mul_hi_u32 v4, v52, 5
	v_add3_u32 v55, v53, v9, v8
	v_mad_u64_u32 v[8:9], vcc, v55, 5, v[4:5]
	v_mov_b32_e32 v4, v8
	v_mad_u64_u32 v[53:54], vcc, v52, 2, v[4:5]
	v_add_co_u32_e32 v8, vcc, v9, v54
	v_addc_co_u32_e64 v9, vcc, 0, 0, vcc
	v_mad_u64_u32 v[8:9], vcc, v55, 2, v[8:9]
	v_sub_co_u32_e32 v53, vcc, v52, v8
	v_subb_co_u32_e32 v54, vcc, v55, v9, vcc
	v_lshrrev_b64 v[53:54], 1, v[53:54]
	v_add_co_u32_e32 v4, vcc, v53, v8
	v_addc_co_u32_e32 v53, vcc, v54, v9, vcc
	v_alignbit_b32 v4, v53, v4, 30
	v_mad_u64_u32 v[8:9], vcc, v4, s66, 0
	v_lshrrev_b32_e32 v53, 30, v53
	v_mov_b32_e32 v4, v9
	v_mad_u64_u32 v[53:54], vcc, v53, s66, v[4:5]
	v_sub_co_u32_e32 v8, vcc, v52, v8
	v_subb_co_u32_e32 v9, vcc, v55, v53, vcc
	s_branch .LBB31_1203
.LBB31_1206:
	s_or_b64 exec, exec, s[52:53]
	v_add_u32_e32 v4, 0x80000001, v8
	v_min_u32_e32 v4, v4, v8
	v_add_u32_e32 v5, 0x80000001, v4
	v_min_u32_e32 v6, v5, v4
.LBB31_1207:
	s_or_b64 exec, exec, s[36:37]
	v_mov_b32_e32 v5, 0
	s_movk_i32 s52, 0x1388
	s_mov_b32 s53, 0xbc8f1391
	s_mov_b32 s54, 0xbc8f
	s_brev_b32 s55, 12
	s_mov_b32 s64, 0xf800000
	v_mov_b32_e32 v4, 0x260
.LBB31_1208:                            ; =>This Inner Loop Header: Depth=1
	v_mul_hi_u32 v7, v6, s53
	v_add_f32_e32 v8, 1.0, v5
	s_add_i32 s52, s52, -2
	s_cmp_lg_u32 s52, 0
	v_lshrrev_b32_e32 v7, 15, v7
	v_mul_u32_u24_e32 v9, 0xadc8, v7
	v_sub_u32_e32 v6, v6, v9
	v_mul_lo_u32 v6, v6, s54
	v_mul_u32_u24_e32 v7, 0xd47, v7
	v_xor_b32_e32 v9, 0x7fffffff, v7
	v_sub_u32_e32 v52, 0, v7
	v_cmp_lt_u32_e32 vcc, v6, v7
	v_cndmask_b32_e32 v7, v52, v9, vcc
	v_add_u32_e32 v6, v7, v6
	v_mul_hi_u32 v9, v6, s53
	v_add_u32_e32 v7, -1, v6
	v_cvt_f32_u32_e32 v7, v7
	v_lshrrev_b32_e32 v9, 15, v9
	v_mul_u32_u24_e32 v52, 0xadc8, v9
	v_sub_u32_e32 v6, v6, v52
	v_mul_lo_u32 v6, v6, s54
	v_mul_u32_u24_e32 v9, 0xd47, v9
	v_xor_b32_e32 v52, 0x7fffffff, v9
	v_sub_u32_e32 v53, 0, v9
	v_cmp_lt_u32_e32 vcc, v6, v9
	v_cndmask_b32_e32 v9, v53, v52, vcc
	v_add_u32_e32 v6, v9, v6
	v_mul_hi_u32 v52, v6, s53
	v_add_u32_e32 v9, -1, v6
	v_cvt_f32_u32_e32 v9, v9
	v_fma_f32 v7, v7, s55, 0
	v_lshrrev_b32_e32 v52, 15, v52
	v_mul_u32_u24_e32 v53, 0xadc8, v52
	v_fma_f32 v9, v9, s55, 0
	v_sub_u32_e32 v6, v6, v53
	v_mul_f32_e32 v9, v9, v9
	v_mul_lo_u32 v6, v6, s54
	v_fmac_f32_e32 v9, v7, v7
	v_mul_f32_e32 v7, 0x4f800000, v9
	v_cmp_gt_f32_e32 vcc, s64, v9
	v_mul_u32_u24_e32 v52, 0xd47, v52
	v_cndmask_b32_e32 v7, v9, v7, vcc
	v_xor_b32_e32 v53, 0x7fffffff, v52
	v_sub_u32_e32 v54, 0, v52
	v_sqrt_f32_e32 v9, v7
	v_cmp_lt_u32_e64 s[36:37], v6, v52
	v_cndmask_b32_e64 v52, v54, v53, s[36:37]
	v_add_u32_e32 v6, v52, v6
	v_mul_hi_u32 v53, v6, s53
	v_add_u32_e32 v54, -1, v9
	v_add_u32_e32 v55, 1, v9
	v_fma_f32 v64, -v54, v9, v7
	v_fma_f32 v65, -v55, v9, v7
	v_cmp_ge_f32_e64 s[36:37], 0, v64
	v_cndmask_b32_e64 v9, v9, v54, s[36:37]
	v_cmp_lt_f32_e64 s[36:37], 0, v65
	v_lshrrev_b32_e32 v53, 15, v53
	v_cndmask_b32_e64 v9, v9, v55, s[36:37]
	v_mul_u32_u24_e32 v55, 0xadc8, v53
	v_add_u32_e32 v52, -1, v6
	v_sub_u32_e32 v6, v6, v55
	v_mul_f32_e32 v54, 0x37800000, v9
	v_mul_lo_u32 v6, v6, s54
	v_cndmask_b32_e32 v9, v9, v54, vcc
	v_cmp_class_f32_e32 vcc, v7, v4
	v_cndmask_b32_e32 v7, v9, v7, vcc
	v_mul_u32_u24_e32 v53, 0xd47, v53
	v_cmp_nge_f32_e32 vcc, 1.0, v7
	v_xor_b32_e32 v54, 0x7fffffff, v53
	v_sub_u32_e32 v55, 0, v53
	v_cndmask_b32_e32 v5, v8, v5, vcc
	v_cmp_lt_u32_e32 vcc, v6, v53
	v_cndmask_b32_e32 v8, v55, v54, vcc
	v_add_u32_e32 v6, v8, v6
	v_add_u32_e32 v8, -1, v6
	v_cvt_f32_u32_e32 v8, v8
	v_cvt_f32_u32_e32 v52, v52
	v_add_f32_e32 v7, 1.0, v5
	v_fma_f32 v8, v8, s55, 0
	v_fma_f32 v52, v52, s55, 0
	v_mul_f32_e32 v8, v8, v8
	v_fmac_f32_e32 v8, v52, v52
	v_mul_f32_e32 v9, 0x4f800000, v8
	v_cmp_gt_f32_e32 vcc, s64, v8
	v_cndmask_b32_e32 v8, v8, v9, vcc
	v_sqrt_f32_e32 v9, v8
	v_add_u32_e32 v52, -1, v9
	v_add_u32_e32 v53, 1, v9
	v_fma_f32 v54, -v52, v9, v8
	v_fma_f32 v55, -v53, v9, v8
	v_cmp_ge_f32_e64 s[36:37], 0, v54
	v_cndmask_b32_e64 v9, v9, v52, s[36:37]
	v_cmp_lt_f32_e64 s[36:37], 0, v55
	v_cndmask_b32_e64 v9, v9, v53, s[36:37]
	v_mul_f32_e32 v52, 0x37800000, v9
	v_cndmask_b32_e32 v9, v9, v52, vcc
	v_cmp_class_f32_e32 vcc, v8, v4
	v_cndmask_b32_e32 v8, v9, v8, vcc
	v_cmp_nge_f32_e32 vcc, 1.0, v8
	v_cndmask_b32_e32 v5, v7, v5, vcc
	s_cbranch_scc1 .LBB31_1208
; %bb.1209:
	v_mul_f32_e32 v4, 4.0, v5
	s_mov_b32 s36, 0x459c4000
	v_div_scale_f32 v5, vcc, s36, s36, v4
	v_div_scale_f32 v6, vcc, v4, s36, v4
	v_rcp_f32_e32 v7, v5
	v_fma_f32 v8, -v5, v7, 1.0
	v_fmac_f32_e32 v7, v8, v7
	v_mul_f32_e32 v8, v6, v7
	v_fma_f32 v9, -v5, v8, v6
	v_fmac_f32_e32 v8, v9, v7
	v_fma_f32 v5, -v5, v8, v6
	v_div_fmas_f32 v5, v5, v7, v8
	v_div_fixup_f32 v52, v5, s36, v4
.LBB31_1210:
	s_or_b64 exec, exec, s[38:39]
	v_add_u32_e32 v5, 0x1f00, v12
	v_cmp_lt_u32_e64 s[36:37], v5, v10
                                        ; implicit-def: $vgpr4
	s_and_saveexec_b64 s[52:53], s[36:37]
	s_cbranch_execz .LBB31_1220
; %bb.1211:
	v_add_u32_e32 v4, v13, v5
	s_movk_i32 vcc_lo, 0x1388
	v_mul_lo_u32 v4, v4, vcc_lo
	v_mov_b32_e32 v6, 1
	v_cmp_ne_u32_e32 vcc, 0, v4
	s_and_saveexec_b64 s[38:39], vcc
	s_cbranch_execz .LBB31_1217
; %bb.1212:
	v_mov_b32_e32 v5, 0
	v_mov_b32_e32 v8, 1
	;; [unrolled: 1-line block ×3, first 2 shown]
	s_mov_b64 s[64:65], 0xbc8f
	v_mov_b32_e32 v9, 0
	s_mov_b64 s[54:55], 0
	s_brev_b32 s68, -2
	v_mov_b32_e32 v6, v4
	s_branch .LBB31_1214
.LBB31_1213:                            ;   in Loop: Header=BB31_1214 Depth=1
	s_or_b64 exec, exec, s[66:67]
	s_mul_i32 vcc_lo, s64, s65
	s_mul_hi_u32 vcc_hi, s64, s64
	s_add_i32 vcc_hi, vcc_hi, vcc_lo
	s_add_i32 s65, vcc_hi, vcc_lo
	s_mul_i32 s64, s64, s64
	s_mul_i32 vcc_hi, s65, 3
	s_mul_hi_u32 s66, s64, 3
	s_mul_hi_u32 vcc_lo, s65, 3
	s_add_u32 vcc_hi, vcc_hi, s66
	s_addc_u32 vcc_lo, vcc_lo, 0
	s_mul_i32 s67, s64, 0x80000001
	s_mul_hi_u32 s66, s64, 0x80000001
	s_add_u32 vcc_hi, s67, vcc_hi
	s_addc_u32 vcc_hi, s66, 0
	s_add_u32 vcc_lo, vcc_lo, vcc_hi
	s_addc_u32 vcc_hi, 0, 0
	s_mul_i32 s67, s65, 0x80000001
	s_mul_hi_u32 s66, s65, 0x80000001
	s_add_u32 vcc_lo, s67, vcc_lo
	s_addc_u32 vcc_hi, s66, vcc_hi
	s_lshr_b32 s66, vcc_hi, 30
	s_lshr_b64 vcc, vcc, 30
	s_mul_i32 s66, s66, 0x7fffffff
	s_mul_hi_u32 vcc_hi, vcc_lo, 0x7fffffff
	v_lshrrev_b64 v[53:54], 1, v[6:7]
	s_add_i32 s66, vcc_hi, s66
	s_mul_i32 vcc_lo, vcc_lo, 0x7fffffff
	s_sub_u32 s64, s64, vcc_lo
	v_cmp_gt_u64_e32 vcc, 2, v[6:7]
	s_subb_u32 s65, s65, s66
	v_mov_b32_e32 v6, v53
	s_or_b64 s[54:55], vcc, s[54:55]
	v_mov_b32_e32 v7, v54
	s_andn2_b64 exec, exec, s[54:55]
	s_cbranch_execz .LBB31_1216
.LBB31_1214:                            ; =>This Inner Loop Header: Depth=1
	v_and_b32_e32 v4, 1, v6
	v_cmp_eq_u32_e32 vcc, 1, v4
	s_and_saveexec_b64 s[66:67], vcc
	s_cbranch_execz .LBB31_1213
; %bb.1215:                             ;   in Loop: Header=BB31_1214 Depth=1
	v_mad_u64_u32 v[53:54], vcc, s64, v8, 0
	v_mul_lo_u32 v8, s65, v8
	v_mul_lo_u32 v9, s64, v9
	v_mul_hi_u32 v4, v53, 5
	v_add3_u32 v13, v54, v9, v8
	v_mad_u64_u32 v[8:9], vcc, v13, 5, v[4:5]
	v_mov_b32_e32 v4, v8
	v_mad_u64_u32 v[54:55], vcc, v53, 2, v[4:5]
	v_add_co_u32_e32 v8, vcc, v9, v55
	v_addc_co_u32_e64 v9, vcc, 0, 0, vcc
	v_mad_u64_u32 v[8:9], vcc, v13, 2, v[8:9]
	v_sub_co_u32_e32 v54, vcc, v53, v8
	v_subb_co_u32_e32 v55, vcc, v13, v9, vcc
	v_lshrrev_b64 v[54:55], 1, v[54:55]
	v_add_co_u32_e32 v4, vcc, v54, v8
	v_addc_co_u32_e32 v54, vcc, v55, v9, vcc
	v_alignbit_b32 v4, v54, v4, 30
	v_mad_u64_u32 v[8:9], vcc, v4, s68, 0
	v_lshrrev_b32_e32 v54, 30, v54
	v_mov_b32_e32 v4, v9
	v_mad_u64_u32 v[54:55], vcc, v54, s68, v[4:5]
	v_sub_co_u32_e32 v8, vcc, v53, v8
	v_subb_co_u32_e32 v9, vcc, v13, v54, vcc
	s_branch .LBB31_1213
.LBB31_1216:
	s_or_b64 exec, exec, s[54:55]
	v_add_u32_e32 v4, 0x80000001, v8
	v_min_u32_e32 v4, v4, v8
	v_add_u32_e32 v5, 0x80000001, v4
	v_min_u32_e32 v6, v5, v4
.LBB31_1217:
	s_or_b64 exec, exec, s[38:39]
	v_mov_b32_e32 v5, 0
	s_movk_i32 s54, 0x1388
	s_mov_b32 s55, 0xbc8f1391
	s_mov_b32 s64, 0xbc8f
	s_brev_b32 s65, 12
	s_mov_b32 s66, 0xf800000
	v_mov_b32_e32 v4, 0x260
.LBB31_1218:                            ; =>This Inner Loop Header: Depth=1
	v_mul_hi_u32 v7, v6, s55
	v_add_f32_e32 v8, 1.0, v5
	s_add_i32 s54, s54, -2
	s_cmp_lg_u32 s54, 0
	v_lshrrev_b32_e32 v7, 15, v7
	v_mul_u32_u24_e32 v9, 0xadc8, v7
	v_sub_u32_e32 v6, v6, v9
	v_mul_lo_u32 v6, v6, s64
	v_mul_u32_u24_e32 v7, 0xd47, v7
	v_xor_b32_e32 v9, 0x7fffffff, v7
	v_sub_u32_e32 v13, 0, v7
	v_cmp_lt_u32_e32 vcc, v6, v7
	v_cndmask_b32_e32 v7, v13, v9, vcc
	v_add_u32_e32 v6, v7, v6
	v_mul_hi_u32 v9, v6, s55
	v_add_u32_e32 v7, -1, v6
	v_cvt_f32_u32_e32 v7, v7
	v_lshrrev_b32_e32 v9, 15, v9
	v_mul_u32_u24_e32 v13, 0xadc8, v9
	v_sub_u32_e32 v6, v6, v13
	v_mul_lo_u32 v6, v6, s64
	v_mul_u32_u24_e32 v9, 0xd47, v9
	v_xor_b32_e32 v13, 0x7fffffff, v9
	v_sub_u32_e32 v53, 0, v9
	v_cmp_lt_u32_e32 vcc, v6, v9
	v_cndmask_b32_e32 v9, v53, v13, vcc
	v_add_u32_e32 v6, v9, v6
	v_mul_hi_u32 v13, v6, s55
	v_add_u32_e32 v9, -1, v6
	v_cvt_f32_u32_e32 v9, v9
	v_fma_f32 v7, v7, s65, 0
	v_lshrrev_b32_e32 v13, 15, v13
	v_mul_u32_u24_e32 v53, 0xadc8, v13
	v_fma_f32 v9, v9, s65, 0
	v_sub_u32_e32 v6, v6, v53
	v_mul_f32_e32 v9, v9, v9
	v_mul_lo_u32 v6, v6, s64
	v_fmac_f32_e32 v9, v7, v7
	v_mul_f32_e32 v7, 0x4f800000, v9
	v_cmp_gt_f32_e32 vcc, s66, v9
	v_mul_u32_u24_e32 v13, 0xd47, v13
	v_cndmask_b32_e32 v7, v9, v7, vcc
	v_xor_b32_e32 v53, 0x7fffffff, v13
	v_sub_u32_e32 v54, 0, v13
	v_sqrt_f32_e32 v9, v7
	v_cmp_lt_u32_e64 s[38:39], v6, v13
	v_cndmask_b32_e64 v13, v54, v53, s[38:39]
	v_add_u32_e32 v6, v13, v6
	v_mul_hi_u32 v53, v6, s55
	v_add_u32_e32 v54, -1, v9
	v_add_u32_e32 v55, 1, v9
	v_fma_f32 v64, -v54, v9, v7
	v_fma_f32 v65, -v55, v9, v7
	v_cmp_ge_f32_e64 s[38:39], 0, v64
	v_cndmask_b32_e64 v9, v9, v54, s[38:39]
	v_cmp_lt_f32_e64 s[38:39], 0, v65
	v_lshrrev_b32_e32 v53, 15, v53
	v_cndmask_b32_e64 v9, v9, v55, s[38:39]
	v_mul_u32_u24_e32 v55, 0xadc8, v53
	v_add_u32_e32 v13, -1, v6
	v_sub_u32_e32 v6, v6, v55
	v_mul_f32_e32 v54, 0x37800000, v9
	v_mul_lo_u32 v6, v6, s64
	v_cndmask_b32_e32 v9, v9, v54, vcc
	v_cmp_class_f32_e32 vcc, v7, v4
	v_cndmask_b32_e32 v7, v9, v7, vcc
	v_mul_u32_u24_e32 v53, 0xd47, v53
	v_cmp_nge_f32_e32 vcc, 1.0, v7
	v_xor_b32_e32 v54, 0x7fffffff, v53
	v_sub_u32_e32 v55, 0, v53
	v_cndmask_b32_e32 v5, v8, v5, vcc
	v_cmp_lt_u32_e32 vcc, v6, v53
	v_cndmask_b32_e32 v8, v55, v54, vcc
	v_add_u32_e32 v6, v8, v6
	v_add_u32_e32 v8, -1, v6
	v_cvt_f32_u32_e32 v8, v8
	v_cvt_f32_u32_e32 v13, v13
	v_add_f32_e32 v7, 1.0, v5
	v_fma_f32 v8, v8, s65, 0
	v_fma_f32 v13, v13, s65, 0
	v_mul_f32_e32 v8, v8, v8
	v_fmac_f32_e32 v8, v13, v13
	v_mul_f32_e32 v9, 0x4f800000, v8
	v_cmp_gt_f32_e32 vcc, s66, v8
	v_cndmask_b32_e32 v8, v8, v9, vcc
	v_sqrt_f32_e32 v9, v8
	v_add_u32_e32 v13, -1, v9
	v_add_u32_e32 v53, 1, v9
	v_fma_f32 v54, -v13, v9, v8
	v_fma_f32 v55, -v53, v9, v8
	v_cmp_ge_f32_e64 s[38:39], 0, v54
	v_cndmask_b32_e64 v9, v9, v13, s[38:39]
	v_cmp_lt_f32_e64 s[38:39], 0, v55
	v_cndmask_b32_e64 v9, v9, v53, s[38:39]
	v_mul_f32_e32 v13, 0x37800000, v9
	v_cndmask_b32_e32 v9, v9, v13, vcc
	v_cmp_class_f32_e32 vcc, v8, v4
	v_cndmask_b32_e32 v8, v9, v8, vcc
	v_cmp_nge_f32_e32 vcc, 1.0, v8
	v_cndmask_b32_e32 v5, v7, v5, vcc
	s_cbranch_scc1 .LBB31_1218
; %bb.1219:
	v_mul_f32_e32 v4, 4.0, v5
	s_mov_b32 s38, 0x459c4000
	v_div_scale_f32 v5, vcc, s38, s38, v4
	v_div_scale_f32 v6, vcc, v4, s38, v4
	v_rcp_f32_e32 v7, v5
	v_fma_f32 v8, -v5, v7, 1.0
	v_fmac_f32_e32 v7, v8, v7
	v_mul_f32_e32 v8, v6, v7
	v_fma_f32 v9, -v5, v8, v6
	v_fmac_f32_e32 v8, v9, v7
	v_fma_f32 v5, -v5, v8, v6
	v_div_fmas_f32 v5, v5, v7, v8
	v_div_fixup_f32 v4, v5, s38, v4
.LBB31_1220:
	s_or_b64 exec, exec, s[52:53]
	v_add_f32_e32 v5, v14, v15
	v_cndmask_b32_e64 v5, v14, v5, s[4:5]
	v_add_f32_e32 v6, v5, v16
	v_cndmask_b32_e64 v5, v5, v6, s[6:7]
	;; [unrolled: 2-line block ×31, first 2 shown]
	v_mbcnt_lo_u32_b32 v4, -1, 0
	v_mbcnt_hi_u32_b32 v4, -1, v4
	v_and_b32_e32 v8, 63, v4
	v_cmp_ne_u32_e32 vcc, 63, v8
	v_addc_co_u32_e32 v6, vcc, 0, v4, vcc
	v_lshlrev_b32_e32 v6, 2, v6
	ds_bpermute_b32 v7, v6, v5
	v_min_u32_e32 v6, 0x100, v10
	v_and_b32_e32 v9, 0x3c0, v12
	v_sub_u32_e64 v9, v6, v9 clamp
	v_add_u32_e32 v10, 1, v8
	v_cmp_gt_u32_e64 s[4:5], 62, v8
	s_waitcnt lgkmcnt(0)
	v_add_f32_e32 v7, v5, v7
	v_cmp_lt_u32_e32 vcc, v10, v9
	v_cndmask_b32_e64 v10, 0, 2, s[4:5]
	v_cndmask_b32_e32 v7, v5, v7, vcc
	v_add_lshl_u32 v10, v10, v4, 2
	ds_bpermute_b32 v10, v10, v7
	v_add_u32_e32 v13, 2, v8
	v_cmp_lt_u32_e64 s[4:5], v13, v9
	v_add_u32_e32 v13, 4, v8
	s_waitcnt lgkmcnt(0)
	v_add_f32_e32 v10, v7, v10
	v_cndmask_b32_e64 v7, v7, v10, s[4:5]
	v_cmp_gt_u32_e64 s[4:5], 60, v8
	v_cndmask_b32_e64 v10, 0, 4, s[4:5]
	v_add_lshl_u32 v10, v10, v4, 2
	ds_bpermute_b32 v10, v10, v7
	v_cmp_lt_u32_e64 s[4:5], v13, v9
	v_add_u32_e32 v13, 8, v8
	s_waitcnt lgkmcnt(0)
	v_add_f32_e32 v10, v7, v10
	v_cndmask_b32_e64 v7, v7, v10, s[4:5]
	v_cmp_gt_u32_e64 s[4:5], 56, v8
	v_cndmask_b32_e64 v10, 0, 8, s[4:5]
	v_add_lshl_u32 v10, v10, v4, 2
	ds_bpermute_b32 v10, v10, v7
	;; [unrolled: 9-line block ×3, first 2 shown]
	v_cmp_lt_u32_e64 s[4:5], v13, v9
	v_add_u32_e32 v8, 32, v8
	s_waitcnt lgkmcnt(0)
	v_add_f32_e32 v10, v7, v10
	v_cndmask_b32_e64 v10, v7, v10, s[4:5]
	v_lshlrev_b32_e32 v7, 2, v4
	v_or_b32_e32 v13, 0x80, v7
	ds_bpermute_b32 v13, v13, v10
	v_cmp_lt_u32_e64 s[4:5], v8, v9
	s_waitcnt lgkmcnt(0)
	v_add_f32_e32 v13, v10, v13
	v_cndmask_b32_e64 v8, v10, v13, s[4:5]
	v_cndmask_b32_e32 v5, v5, v8, vcc
	v_cmp_eq_u32_e32 vcc, 0, v4
	s_and_saveexec_b64 s[4:5], vcc
; %bb.1221:
	v_lshrrev_b32_e32 v8, 4, v12
	v_and_b32_e32 v8, 60, v8
	ds_write_b32 v8, v5 offset:96
; %bb.1222:
	s_or_b64 exec, exec, s[4:5]
	v_cmp_gt_u32_e32 vcc, 4, v12
	s_waitcnt lgkmcnt(0)
	s_barrier
	s_and_saveexec_b64 s[6:7], vcc
	s_cbranch_execz .LBB31_1224
; %bb.1223:
	ds_read_b32 v5, v7 offset:96
	v_and_b32_e32 v8, 3, v4
	v_cmp_ne_u32_e32 vcc, 3, v8
	v_addc_co_u32_e32 v4, vcc, 0, v4, vcc
	v_lshlrev_b32_e32 v4, 2, v4
	s_waitcnt lgkmcnt(0)
	ds_bpermute_b32 v4, v4, v5
	v_add_u32_e32 v6, 63, v6
	v_lshrrev_b32_e32 v6, 6, v6
	v_add_u32_e32 v9, 1, v8
	v_cmp_lt_u32_e32 vcc, v9, v6
	s_waitcnt lgkmcnt(0)
	v_add_f32_e32 v4, v5, v4
	v_cndmask_b32_e32 v4, v5, v4, vcc
	v_or_b32_e32 v7, 8, v7
	ds_bpermute_b32 v7, v7, v4
	v_add_u32_e32 v8, 2, v8
	v_cmp_lt_u32_e64 s[4:5], v8, v6
	s_waitcnt lgkmcnt(0)
	v_add_f32_e32 v7, v4, v7
	v_cndmask_b32_e64 v4, v4, v7, s[4:5]
	v_cndmask_b32_e32 v5, v5, v4, vcc
.LBB31_1224:
	s_or_b64 exec, exec, s[6:7]
	s_or_b64 exec, exec, s[50:51]
	v_cmp_eq_u32_e32 vcc, 0, v12
	s_and_b64 exec, exec, vcc
	s_cbranch_execz .LBB31_1225
; %bb.1227:
	s_getpc_b64 s[70:71]
.Lpost_getpc1:
	s_add_u32 s70, s70, (.LBB31_29-.Lpost_getpc1)&4294967295
	s_addc_u32 s71, s71, (.LBB31_29-.Lpost_getpc1)>>32
	s_setpc_b64 s[70:71]
.LBB31_1225:
	s_getpc_b64 s[70:71]
.Lpost_getpc0:
	s_add_u32 s70, s70, (.LBB31_30-.Lpost_getpc0)&4294967295
	s_addc_u32 s71, s71, (.LBB31_30-.Lpost_getpc0)>>32
	s_setpc_b64 s[70:71]
.Lfunc_end31:
	.size	_ZN7rocprim17ROCPRIM_400000_NS6detail18constexpr_for_implIZZNS1_11reduce_implILb1ENS0_14default_configEN6thrust23THRUST_200600_302600_NS11hip_rocprim26transform_input_iterator_tIfNS6_17counting_iteratorIiNS6_11use_defaultESA_SA_EE11estimate_piEEPffNS6_4plusIfEEEE10hipError_tPvRmT1_T2_T3_mT4_P12ihipStream_tbENUlT_E1_clINS1_13target_configIS4_NS1_22reduce_config_selectorIfEENS1_11comp_targetILNS1_3genE2ELNS1_11target_archE906ELNS1_3gpuE6ELNS1_3repE0EEELNS0_4arch9wavefront6targetE1EEEEEDaSQ_EUlSQ_E_TnDaLi0ETnDaLi1EJLm0ELm1ELm2ELm3ELm4ELm5EEEEvOSQ_St16integer_sequenceImJXspT2_EEE, .Lfunc_end31-_ZN7rocprim17ROCPRIM_400000_NS6detail18constexpr_for_implIZZNS1_11reduce_implILb1ENS0_14default_configEN6thrust23THRUST_200600_302600_NS11hip_rocprim26transform_input_iterator_tIfNS6_17counting_iteratorIiNS6_11use_defaultESA_SA_EE11estimate_piEEPffNS6_4plusIfEEEE10hipError_tPvRmT1_T2_T3_mT4_P12ihipStream_tbENUlT_E1_clINS1_13target_configIS4_NS1_22reduce_config_selectorIfEENS1_11comp_targetILNS1_3genE2ELNS1_11target_archE906ELNS1_3gpuE6ELNS1_3repE0EEELNS0_4arch9wavefront6targetE1EEEEEDaSQ_EUlSQ_E_TnDaLi0ETnDaLi1EJLm0ELm1ELm2ELm3ELm4ELm5EEEEvOSQ_St16integer_sequenceImJXspT2_EEE
                                        ; -- End function
	.set .L_ZN7rocprim17ROCPRIM_400000_NS6detail18constexpr_for_implIZZNS1_11reduce_implILb1ENS0_14default_configEN6thrust23THRUST_200600_302600_NS11hip_rocprim26transform_input_iterator_tIfNS6_17counting_iteratorIiNS6_11use_defaultESA_SA_EE11estimate_piEEPffNS6_4plusIfEEEE10hipError_tPvRmT1_T2_T3_mT4_P12ihipStream_tbENUlT_E1_clINS1_13target_configIS4_NS1_22reduce_config_selectorIfEENS1_11comp_targetILNS1_3genE2ELNS1_11target_archE906ELNS1_3gpuE6ELNS1_3repE0EEELNS0_4arch9wavefront6targetE1EEEEEDaSQ_EUlSQ_E_TnDaLi0ETnDaLi1EJLm0ELm1ELm2ELm3ELm4ELm5EEEEvOSQ_St16integer_sequenceImJXspT2_EEE.num_vgpr, 84
	.set .L_ZN7rocprim17ROCPRIM_400000_NS6detail18constexpr_for_implIZZNS1_11reduce_implILb1ENS0_14default_configEN6thrust23THRUST_200600_302600_NS11hip_rocprim26transform_input_iterator_tIfNS6_17counting_iteratorIiNS6_11use_defaultESA_SA_EE11estimate_piEEPffNS6_4plusIfEEEE10hipError_tPvRmT1_T2_T3_mT4_P12ihipStream_tbENUlT_E1_clINS1_13target_configIS4_NS1_22reduce_config_selectorIfEENS1_11comp_targetILNS1_3genE2ELNS1_11target_archE906ELNS1_3gpuE6ELNS1_3repE0EEELNS0_4arch9wavefront6targetE1EEEEEDaSQ_EUlSQ_E_TnDaLi0ETnDaLi1EJLm0ELm1ELm2ELm3ELm4ELm5EEEEvOSQ_St16integer_sequenceImJXspT2_EEE.num_agpr, 0
	.set .L_ZN7rocprim17ROCPRIM_400000_NS6detail18constexpr_for_implIZZNS1_11reduce_implILb1ENS0_14default_configEN6thrust23THRUST_200600_302600_NS11hip_rocprim26transform_input_iterator_tIfNS6_17counting_iteratorIiNS6_11use_defaultESA_SA_EE11estimate_piEEPffNS6_4plusIfEEEE10hipError_tPvRmT1_T2_T3_mT4_P12ihipStream_tbENUlT_E1_clINS1_13target_configIS4_NS1_22reduce_config_selectorIfEENS1_11comp_targetILNS1_3genE2ELNS1_11target_archE906ELNS1_3gpuE6ELNS1_3repE0EEELNS0_4arch9wavefront6targetE1EEEEEDaSQ_EUlSQ_E_TnDaLi0ETnDaLi1EJLm0ELm1ELm2ELm3ELm4ELm5EEEEvOSQ_St16integer_sequenceImJXspT2_EEE.numbered_sgpr, 96
	.set .L_ZN7rocprim17ROCPRIM_400000_NS6detail18constexpr_for_implIZZNS1_11reduce_implILb1ENS0_14default_configEN6thrust23THRUST_200600_302600_NS11hip_rocprim26transform_input_iterator_tIfNS6_17counting_iteratorIiNS6_11use_defaultESA_SA_EE11estimate_piEEPffNS6_4plusIfEEEE10hipError_tPvRmT1_T2_T3_mT4_P12ihipStream_tbENUlT_E1_clINS1_13target_configIS4_NS1_22reduce_config_selectorIfEENS1_11comp_targetILNS1_3genE2ELNS1_11target_archE906ELNS1_3gpuE6ELNS1_3repE0EEELNS0_4arch9wavefront6targetE1EEEEEDaSQ_EUlSQ_E_TnDaLi0ETnDaLi1EJLm0ELm1ELm2ELm3ELm4ELm5EEEEvOSQ_St16integer_sequenceImJXspT2_EEE.num_named_barrier, 0
	.set .L_ZN7rocprim17ROCPRIM_400000_NS6detail18constexpr_for_implIZZNS1_11reduce_implILb1ENS0_14default_configEN6thrust23THRUST_200600_302600_NS11hip_rocprim26transform_input_iterator_tIfNS6_17counting_iteratorIiNS6_11use_defaultESA_SA_EE11estimate_piEEPffNS6_4plusIfEEEE10hipError_tPvRmT1_T2_T3_mT4_P12ihipStream_tbENUlT_E1_clINS1_13target_configIS4_NS1_22reduce_config_selectorIfEENS1_11comp_targetILNS1_3genE2ELNS1_11target_archE906ELNS1_3gpuE6ELNS1_3repE0EEELNS0_4arch9wavefront6targetE1EEEEEDaSQ_EUlSQ_E_TnDaLi0ETnDaLi1EJLm0ELm1ELm2ELm3ELm4ELm5EEEEvOSQ_St16integer_sequenceImJXspT2_EEE.private_seg_size, 8
	.set .L_ZN7rocprim17ROCPRIM_400000_NS6detail18constexpr_for_implIZZNS1_11reduce_implILb1ENS0_14default_configEN6thrust23THRUST_200600_302600_NS11hip_rocprim26transform_input_iterator_tIfNS6_17counting_iteratorIiNS6_11use_defaultESA_SA_EE11estimate_piEEPffNS6_4plusIfEEEE10hipError_tPvRmT1_T2_T3_mT4_P12ihipStream_tbENUlT_E1_clINS1_13target_configIS4_NS1_22reduce_config_selectorIfEENS1_11comp_targetILNS1_3genE2ELNS1_11target_archE906ELNS1_3gpuE6ELNS1_3repE0EEELNS0_4arch9wavefront6targetE1EEEEEDaSQ_EUlSQ_E_TnDaLi0ETnDaLi1EJLm0ELm1ELm2ELm3ELm4ELm5EEEEvOSQ_St16integer_sequenceImJXspT2_EEE.uses_vcc, 1
	.set .L_ZN7rocprim17ROCPRIM_400000_NS6detail18constexpr_for_implIZZNS1_11reduce_implILb1ENS0_14default_configEN6thrust23THRUST_200600_302600_NS11hip_rocprim26transform_input_iterator_tIfNS6_17counting_iteratorIiNS6_11use_defaultESA_SA_EE11estimate_piEEPffNS6_4plusIfEEEE10hipError_tPvRmT1_T2_T3_mT4_P12ihipStream_tbENUlT_E1_clINS1_13target_configIS4_NS1_22reduce_config_selectorIfEENS1_11comp_targetILNS1_3genE2ELNS1_11target_archE906ELNS1_3gpuE6ELNS1_3repE0EEELNS0_4arch9wavefront6targetE1EEEEEDaSQ_EUlSQ_E_TnDaLi0ETnDaLi1EJLm0ELm1ELm2ELm3ELm4ELm5EEEEvOSQ_St16integer_sequenceImJXspT2_EEE.uses_flat_scratch, 0
	.set .L_ZN7rocprim17ROCPRIM_400000_NS6detail18constexpr_for_implIZZNS1_11reduce_implILb1ENS0_14default_configEN6thrust23THRUST_200600_302600_NS11hip_rocprim26transform_input_iterator_tIfNS6_17counting_iteratorIiNS6_11use_defaultESA_SA_EE11estimate_piEEPffNS6_4plusIfEEEE10hipError_tPvRmT1_T2_T3_mT4_P12ihipStream_tbENUlT_E1_clINS1_13target_configIS4_NS1_22reduce_config_selectorIfEENS1_11comp_targetILNS1_3genE2ELNS1_11target_archE906ELNS1_3gpuE6ELNS1_3repE0EEELNS0_4arch9wavefront6targetE1EEEEEDaSQ_EUlSQ_E_TnDaLi0ETnDaLi1EJLm0ELm1ELm2ELm3ELm4ELm5EEEEvOSQ_St16integer_sequenceImJXspT2_EEE.has_dyn_sized_stack, 0
	.set .L_ZN7rocprim17ROCPRIM_400000_NS6detail18constexpr_for_implIZZNS1_11reduce_implILb1ENS0_14default_configEN6thrust23THRUST_200600_302600_NS11hip_rocprim26transform_input_iterator_tIfNS6_17counting_iteratorIiNS6_11use_defaultESA_SA_EE11estimate_piEEPffNS6_4plusIfEEEE10hipError_tPvRmT1_T2_T3_mT4_P12ihipStream_tbENUlT_E1_clINS1_13target_configIS4_NS1_22reduce_config_selectorIfEENS1_11comp_targetILNS1_3genE2ELNS1_11target_archE906ELNS1_3gpuE6ELNS1_3repE0EEELNS0_4arch9wavefront6targetE1EEEEEDaSQ_EUlSQ_E_TnDaLi0ETnDaLi1EJLm0ELm1ELm2ELm3ELm4ELm5EEEEvOSQ_St16integer_sequenceImJXspT2_EEE.has_recursion, 0
	.set .L_ZN7rocprim17ROCPRIM_400000_NS6detail18constexpr_for_implIZZNS1_11reduce_implILb1ENS0_14default_configEN6thrust23THRUST_200600_302600_NS11hip_rocprim26transform_input_iterator_tIfNS6_17counting_iteratorIiNS6_11use_defaultESA_SA_EE11estimate_piEEPffNS6_4plusIfEEEE10hipError_tPvRmT1_T2_T3_mT4_P12ihipStream_tbENUlT_E1_clINS1_13target_configIS4_NS1_22reduce_config_selectorIfEENS1_11comp_targetILNS1_3genE2ELNS1_11target_archE906ELNS1_3gpuE6ELNS1_3repE0EEELNS0_4arch9wavefront6targetE1EEEEEDaSQ_EUlSQ_E_TnDaLi0ETnDaLi1EJLm0ELm1ELm2ELm3ELm4ELm5EEEEvOSQ_St16integer_sequenceImJXspT2_EEE.has_indirect_call, 0
	.section	.AMDGPU.csdata,"",@progbits
; Function info:
; codeLenInByte = 152400
; TotalNumSgprs: 100
; NumVgprs: 84
; ScratchSize: 8
; MemoryBound: 0
	.section	.text._ZN7rocprim17ROCPRIM_400000_NS6detail17trampoline_kernelINS0_14default_configENS1_22reduce_config_selectorIfEEZNS1_11reduce_implILb1ES3_N6thrust23THRUST_200600_302600_NS11hip_rocprim26transform_input_iterator_tIfNS8_17counting_iteratorIiNS8_11use_defaultESC_SC_EE11estimate_piEEPffNS8_4plusIfEEEE10hipError_tPvRmT1_T2_T3_mT4_P12ihipStream_tbEUlT_E1_NS1_11comp_targetILNS1_3genE2ELNS1_11target_archE906ELNS1_3gpuE6ELNS1_3repE0EEENS1_30default_config_static_selectorELNS0_4arch9wavefront6targetE1EEEvSM_,"axG",@progbits,_ZN7rocprim17ROCPRIM_400000_NS6detail17trampoline_kernelINS0_14default_configENS1_22reduce_config_selectorIfEEZNS1_11reduce_implILb1ES3_N6thrust23THRUST_200600_302600_NS11hip_rocprim26transform_input_iterator_tIfNS8_17counting_iteratorIiNS8_11use_defaultESC_SC_EE11estimate_piEEPffNS8_4plusIfEEEE10hipError_tPvRmT1_T2_T3_mT4_P12ihipStream_tbEUlT_E1_NS1_11comp_targetILNS1_3genE2ELNS1_11target_archE906ELNS1_3gpuE6ELNS1_3repE0EEENS1_30default_config_static_selectorELNS0_4arch9wavefront6targetE1EEEvSM_,comdat
	.protected	_ZN7rocprim17ROCPRIM_400000_NS6detail17trampoline_kernelINS0_14default_configENS1_22reduce_config_selectorIfEEZNS1_11reduce_implILb1ES3_N6thrust23THRUST_200600_302600_NS11hip_rocprim26transform_input_iterator_tIfNS8_17counting_iteratorIiNS8_11use_defaultESC_SC_EE11estimate_piEEPffNS8_4plusIfEEEE10hipError_tPvRmT1_T2_T3_mT4_P12ihipStream_tbEUlT_E1_NS1_11comp_targetILNS1_3genE2ELNS1_11target_archE906ELNS1_3gpuE6ELNS1_3repE0EEENS1_30default_config_static_selectorELNS0_4arch9wavefront6targetE1EEEvSM_ ; -- Begin function _ZN7rocprim17ROCPRIM_400000_NS6detail17trampoline_kernelINS0_14default_configENS1_22reduce_config_selectorIfEEZNS1_11reduce_implILb1ES3_N6thrust23THRUST_200600_302600_NS11hip_rocprim26transform_input_iterator_tIfNS8_17counting_iteratorIiNS8_11use_defaultESC_SC_EE11estimate_piEEPffNS8_4plusIfEEEE10hipError_tPvRmT1_T2_T3_mT4_P12ihipStream_tbEUlT_E1_NS1_11comp_targetILNS1_3genE2ELNS1_11target_archE906ELNS1_3gpuE6ELNS1_3repE0EEENS1_30default_config_static_selectorELNS0_4arch9wavefront6targetE1EEEvSM_
	.globl	_ZN7rocprim17ROCPRIM_400000_NS6detail17trampoline_kernelINS0_14default_configENS1_22reduce_config_selectorIfEEZNS1_11reduce_implILb1ES3_N6thrust23THRUST_200600_302600_NS11hip_rocprim26transform_input_iterator_tIfNS8_17counting_iteratorIiNS8_11use_defaultESC_SC_EE11estimate_piEEPffNS8_4plusIfEEEE10hipError_tPvRmT1_T2_T3_mT4_P12ihipStream_tbEUlT_E1_NS1_11comp_targetILNS1_3genE2ELNS1_11target_archE906ELNS1_3gpuE6ELNS1_3repE0EEENS1_30default_config_static_selectorELNS0_4arch9wavefront6targetE1EEEvSM_
	.p2align	8
	.type	_ZN7rocprim17ROCPRIM_400000_NS6detail17trampoline_kernelINS0_14default_configENS1_22reduce_config_selectorIfEEZNS1_11reduce_implILb1ES3_N6thrust23THRUST_200600_302600_NS11hip_rocprim26transform_input_iterator_tIfNS8_17counting_iteratorIiNS8_11use_defaultESC_SC_EE11estimate_piEEPffNS8_4plusIfEEEE10hipError_tPvRmT1_T2_T3_mT4_P12ihipStream_tbEUlT_E1_NS1_11comp_targetILNS1_3genE2ELNS1_11target_archE906ELNS1_3gpuE6ELNS1_3repE0EEENS1_30default_config_static_selectorELNS0_4arch9wavefront6targetE1EEEvSM_,@function
_ZN7rocprim17ROCPRIM_400000_NS6detail17trampoline_kernelINS0_14default_configENS1_22reduce_config_selectorIfEEZNS1_11reduce_implILb1ES3_N6thrust23THRUST_200600_302600_NS11hip_rocprim26transform_input_iterator_tIfNS8_17counting_iteratorIiNS8_11use_defaultESC_SC_EE11estimate_piEEPffNS8_4plusIfEEEE10hipError_tPvRmT1_T2_T3_mT4_P12ihipStream_tbEUlT_E1_NS1_11comp_targetILNS1_3genE2ELNS1_11target_archE906ELNS1_3gpuE6ELNS1_3repE0EEENS1_30default_config_static_selectorELNS0_4arch9wavefront6targetE1EEEvSM_: ; @_ZN7rocprim17ROCPRIM_400000_NS6detail17trampoline_kernelINS0_14default_configENS1_22reduce_config_selectorIfEEZNS1_11reduce_implILb1ES3_N6thrust23THRUST_200600_302600_NS11hip_rocprim26transform_input_iterator_tIfNS8_17counting_iteratorIiNS8_11use_defaultESC_SC_EE11estimate_piEEPffNS8_4plusIfEEEE10hipError_tPvRmT1_T2_T3_mT4_P12ihipStream_tbEUlT_E1_NS1_11comp_targetILNS1_3genE2ELNS1_11target_archE906ELNS1_3gpuE6ELNS1_3repE0EEENS1_30default_config_static_selectorELNS0_4arch9wavefront6targetE1EEEvSM_
; %bb.0:
	s_add_u32 flat_scratch_lo, s6, s9
	s_addc_u32 flat_scratch_hi, s7, 0
	s_add_u32 s0, s0, s9
	s_mov_b32 s12, s8
	s_load_dwordx8 s[16:23], s[4:5], 0x0
	s_load_dwordx4 s[8:11], s[4:5], 0x18
	s_addc_u32 s1, s1, 0
	s_mov_b64 s[6:7], src_private_base
	s_add_u32 s6, 0, 56
	s_waitcnt lgkmcnt(0)
	v_mov_b32_e32 v1, s19
	buffer_store_dword v1, off, s[0:3], 0 offset:60
	v_mov_b32_e32 v1, s18
	buffer_store_dword v1, off, s[0:3], 0 offset:56
	;; [unrolled: 2-line block ×12, first 2 shown]
	v_or_b32_e64 v1, 48, 4
	v_mov_b32_e32 v2, s7
	s_addc_u32 s8, s7, 0
	buffer_store_dword v2, off, s[0:3], 0 offset:4
	buffer_store_dword v1, off, s[0:3], 0
	v_mov_b32_e32 v1, s8
	buffer_store_dword v1, off, s[0:3], 0 offset:12
	v_mov_b32_e32 v1, s6
	s_add_u32 s6, 0, 64
	s_addc_u32 s8, s7, 0
	buffer_store_dword v1, off, s[0:3], 0 offset:8
	v_mov_b32_e32 v1, s8
	buffer_store_dword v1, off, s[0:3], 0 offset:20
	v_mov_b32_e32 v1, s6
	s_add_u32 s6, 0, 0x48
	s_addc_u32 s8, s7, 0
	buffer_store_dword v1, off, s[0:3], 0 offset:16
	;; [unrolled: 6-line block ×4, first 2 shown]
	v_mov_b32_e32 v1, s8
	s_add_u32 s8, s4, 40
	buffer_store_dword v1, off, s[0:3], 0 offset:44
	v_mov_b32_e32 v1, s6
	s_addc_u32 s9, s5, 0
	buffer_store_dword v1, off, s[0:3], 0 offset:40
	s_getpc_b64 s[4:5]
	s_add_u32 s4, s4, _ZN7rocprim17ROCPRIM_400000_NS6detail18constexpr_for_implIZZNS1_11reduce_implILb1ENS0_14default_configEN6thrust23THRUST_200600_302600_NS11hip_rocprim26transform_input_iterator_tIfNS6_17counting_iteratorIiNS6_11use_defaultESA_SA_EE11estimate_piEEPffNS6_4plusIfEEEE10hipError_tPvRmT1_T2_T3_mT4_P12ihipStream_tbENUlT_E1_clINS1_13target_configIS4_NS1_22reduce_config_selectorIfEENS1_11comp_targetILNS1_3genE2ELNS1_11target_archE906ELNS1_3gpuE6ELNS1_3repE0EEELNS0_4arch9wavefront6targetE1EEEEEDaSQ_EUlSQ_E_TnDaLi0ETnDaLi1EJLm0ELm1ELm2ELm3ELm4ELm5EEEEvOSQ_St16integer_sequenceImJXspT2_EEE@rel32@lo+4
	s_addc_u32 s5, s5, _ZN7rocprim17ROCPRIM_400000_NS6detail18constexpr_for_implIZZNS1_11reduce_implILb1ENS0_14default_configEN6thrust23THRUST_200600_302600_NS11hip_rocprim26transform_input_iterator_tIfNS6_17counting_iteratorIiNS6_11use_defaultESA_SA_EE11estimate_piEEPffNS6_4plusIfEEEE10hipError_tPvRmT1_T2_T3_mT4_P12ihipStream_tbENUlT_E1_clINS1_13target_configIS4_NS1_22reduce_config_selectorIfEENS1_11comp_targetILNS1_3genE2ELNS1_11target_archE906ELNS1_3gpuE6ELNS1_3repE0EEELNS0_4arch9wavefront6targetE1EEEEEDaSQ_EUlSQ_E_TnDaLi0ETnDaLi1EJLm0ELm1ELm2ELm3ELm4ELm5EEEEvOSQ_St16integer_sequenceImJXspT2_EEE@rel32@hi+12
	v_mov_b32_e32 v31, v0
	v_mov_b32_e32 v0, 0
	;; [unrolled: 1-line block ×3, first 2 shown]
	s_movk_i32 s32, 0x1800
	s_swappc_b64 s[30:31], s[4:5]
	s_endpgm
	.section	.rodata,"a",@progbits
	.p2align	6, 0x0
	.amdhsa_kernel _ZN7rocprim17ROCPRIM_400000_NS6detail17trampoline_kernelINS0_14default_configENS1_22reduce_config_selectorIfEEZNS1_11reduce_implILb1ES3_N6thrust23THRUST_200600_302600_NS11hip_rocprim26transform_input_iterator_tIfNS8_17counting_iteratorIiNS8_11use_defaultESC_SC_EE11estimate_piEEPffNS8_4plusIfEEEE10hipError_tPvRmT1_T2_T3_mT4_P12ihipStream_tbEUlT_E1_NS1_11comp_targetILNS1_3genE2ELNS1_11target_archE906ELNS1_3gpuE6ELNS1_3repE0EEENS1_30default_config_static_selectorELNS0_4arch9wavefront6targetE1EEEvSM_
		.amdhsa_group_segment_fixed_size 112
		.amdhsa_private_segment_fixed_size 104
		.amdhsa_kernarg_size 296
		.amdhsa_user_sgpr_count 8
		.amdhsa_user_sgpr_private_segment_buffer 1
		.amdhsa_user_sgpr_dispatch_ptr 0
		.amdhsa_user_sgpr_queue_ptr 0
		.amdhsa_user_sgpr_kernarg_segment_ptr 1
		.amdhsa_user_sgpr_dispatch_id 0
		.amdhsa_user_sgpr_flat_scratch_init 1
		.amdhsa_user_sgpr_private_segment_size 0
		.amdhsa_uses_dynamic_stack 0
		.amdhsa_system_sgpr_private_segment_wavefront_offset 1
		.amdhsa_system_sgpr_workgroup_id_x 1
		.amdhsa_system_sgpr_workgroup_id_y 0
		.amdhsa_system_sgpr_workgroup_id_z 0
		.amdhsa_system_sgpr_workgroup_info 0
		.amdhsa_system_vgpr_workitem_id 0
		.amdhsa_next_free_vgpr 84
		.amdhsa_next_free_sgpr 96
		.amdhsa_reserve_vcc 1
		.amdhsa_reserve_flat_scratch 1
		.amdhsa_float_round_mode_32 0
		.amdhsa_float_round_mode_16_64 0
		.amdhsa_float_denorm_mode_32 3
		.amdhsa_float_denorm_mode_16_64 3
		.amdhsa_dx10_clamp 1
		.amdhsa_ieee_mode 1
		.amdhsa_fp16_overflow 0
		.amdhsa_exception_fp_ieee_invalid_op 0
		.amdhsa_exception_fp_denorm_src 0
		.amdhsa_exception_fp_ieee_div_zero 0
		.amdhsa_exception_fp_ieee_overflow 0
		.amdhsa_exception_fp_ieee_underflow 0
		.amdhsa_exception_fp_ieee_inexact 0
		.amdhsa_exception_int_div_zero 0
	.end_amdhsa_kernel
	.section	.text._ZN7rocprim17ROCPRIM_400000_NS6detail17trampoline_kernelINS0_14default_configENS1_22reduce_config_selectorIfEEZNS1_11reduce_implILb1ES3_N6thrust23THRUST_200600_302600_NS11hip_rocprim26transform_input_iterator_tIfNS8_17counting_iteratorIiNS8_11use_defaultESC_SC_EE11estimate_piEEPffNS8_4plusIfEEEE10hipError_tPvRmT1_T2_T3_mT4_P12ihipStream_tbEUlT_E1_NS1_11comp_targetILNS1_3genE2ELNS1_11target_archE906ELNS1_3gpuE6ELNS1_3repE0EEENS1_30default_config_static_selectorELNS0_4arch9wavefront6targetE1EEEvSM_,"axG",@progbits,_ZN7rocprim17ROCPRIM_400000_NS6detail17trampoline_kernelINS0_14default_configENS1_22reduce_config_selectorIfEEZNS1_11reduce_implILb1ES3_N6thrust23THRUST_200600_302600_NS11hip_rocprim26transform_input_iterator_tIfNS8_17counting_iteratorIiNS8_11use_defaultESC_SC_EE11estimate_piEEPffNS8_4plusIfEEEE10hipError_tPvRmT1_T2_T3_mT4_P12ihipStream_tbEUlT_E1_NS1_11comp_targetILNS1_3genE2ELNS1_11target_archE906ELNS1_3gpuE6ELNS1_3repE0EEENS1_30default_config_static_selectorELNS0_4arch9wavefront6targetE1EEEvSM_,comdat
.Lfunc_end32:
	.size	_ZN7rocprim17ROCPRIM_400000_NS6detail17trampoline_kernelINS0_14default_configENS1_22reduce_config_selectorIfEEZNS1_11reduce_implILb1ES3_N6thrust23THRUST_200600_302600_NS11hip_rocprim26transform_input_iterator_tIfNS8_17counting_iteratorIiNS8_11use_defaultESC_SC_EE11estimate_piEEPffNS8_4plusIfEEEE10hipError_tPvRmT1_T2_T3_mT4_P12ihipStream_tbEUlT_E1_NS1_11comp_targetILNS1_3genE2ELNS1_11target_archE906ELNS1_3gpuE6ELNS1_3repE0EEENS1_30default_config_static_selectorELNS0_4arch9wavefront6targetE1EEEvSM_, .Lfunc_end32-_ZN7rocprim17ROCPRIM_400000_NS6detail17trampoline_kernelINS0_14default_configENS1_22reduce_config_selectorIfEEZNS1_11reduce_implILb1ES3_N6thrust23THRUST_200600_302600_NS11hip_rocprim26transform_input_iterator_tIfNS8_17counting_iteratorIiNS8_11use_defaultESC_SC_EE11estimate_piEEPffNS8_4plusIfEEEE10hipError_tPvRmT1_T2_T3_mT4_P12ihipStream_tbEUlT_E1_NS1_11comp_targetILNS1_3genE2ELNS1_11target_archE906ELNS1_3gpuE6ELNS1_3repE0EEENS1_30default_config_static_selectorELNS0_4arch9wavefront6targetE1EEEvSM_
                                        ; -- End function
	.set _ZN7rocprim17ROCPRIM_400000_NS6detail17trampoline_kernelINS0_14default_configENS1_22reduce_config_selectorIfEEZNS1_11reduce_implILb1ES3_N6thrust23THRUST_200600_302600_NS11hip_rocprim26transform_input_iterator_tIfNS8_17counting_iteratorIiNS8_11use_defaultESC_SC_EE11estimate_piEEPffNS8_4plusIfEEEE10hipError_tPvRmT1_T2_T3_mT4_P12ihipStream_tbEUlT_E1_NS1_11comp_targetILNS1_3genE2ELNS1_11target_archE906ELNS1_3gpuE6ELNS1_3repE0EEENS1_30default_config_static_selectorELNS0_4arch9wavefront6targetE1EEEvSM_.num_vgpr, max(32, .L_ZN7rocprim17ROCPRIM_400000_NS6detail18constexpr_for_implIZZNS1_11reduce_implILb1ENS0_14default_configEN6thrust23THRUST_200600_302600_NS11hip_rocprim26transform_input_iterator_tIfNS6_17counting_iteratorIiNS6_11use_defaultESA_SA_EE11estimate_piEEPffNS6_4plusIfEEEE10hipError_tPvRmT1_T2_T3_mT4_P12ihipStream_tbENUlT_E1_clINS1_13target_configIS4_NS1_22reduce_config_selectorIfEENS1_11comp_targetILNS1_3genE2ELNS1_11target_archE906ELNS1_3gpuE6ELNS1_3repE0EEELNS0_4arch9wavefront6targetE1EEEEEDaSQ_EUlSQ_E_TnDaLi0ETnDaLi1EJLm0ELm1ELm2ELm3ELm4ELm5EEEEvOSQ_St16integer_sequenceImJXspT2_EEE.num_vgpr)
	.set _ZN7rocprim17ROCPRIM_400000_NS6detail17trampoline_kernelINS0_14default_configENS1_22reduce_config_selectorIfEEZNS1_11reduce_implILb1ES3_N6thrust23THRUST_200600_302600_NS11hip_rocprim26transform_input_iterator_tIfNS8_17counting_iteratorIiNS8_11use_defaultESC_SC_EE11estimate_piEEPffNS8_4plusIfEEEE10hipError_tPvRmT1_T2_T3_mT4_P12ihipStream_tbEUlT_E1_NS1_11comp_targetILNS1_3genE2ELNS1_11target_archE906ELNS1_3gpuE6ELNS1_3repE0EEENS1_30default_config_static_selectorELNS0_4arch9wavefront6targetE1EEEvSM_.num_agpr, max(0, .L_ZN7rocprim17ROCPRIM_400000_NS6detail18constexpr_for_implIZZNS1_11reduce_implILb1ENS0_14default_configEN6thrust23THRUST_200600_302600_NS11hip_rocprim26transform_input_iterator_tIfNS6_17counting_iteratorIiNS6_11use_defaultESA_SA_EE11estimate_piEEPffNS6_4plusIfEEEE10hipError_tPvRmT1_T2_T3_mT4_P12ihipStream_tbENUlT_E1_clINS1_13target_configIS4_NS1_22reduce_config_selectorIfEENS1_11comp_targetILNS1_3genE2ELNS1_11target_archE906ELNS1_3gpuE6ELNS1_3repE0EEELNS0_4arch9wavefront6targetE1EEEEEDaSQ_EUlSQ_E_TnDaLi0ETnDaLi1EJLm0ELm1ELm2ELm3ELm4ELm5EEEEvOSQ_St16integer_sequenceImJXspT2_EEE.num_agpr)
	.set _ZN7rocprim17ROCPRIM_400000_NS6detail17trampoline_kernelINS0_14default_configENS1_22reduce_config_selectorIfEEZNS1_11reduce_implILb1ES3_N6thrust23THRUST_200600_302600_NS11hip_rocprim26transform_input_iterator_tIfNS8_17counting_iteratorIiNS8_11use_defaultESC_SC_EE11estimate_piEEPffNS8_4plusIfEEEE10hipError_tPvRmT1_T2_T3_mT4_P12ihipStream_tbEUlT_E1_NS1_11comp_targetILNS1_3genE2ELNS1_11target_archE906ELNS1_3gpuE6ELNS1_3repE0EEENS1_30default_config_static_selectorELNS0_4arch9wavefront6targetE1EEEvSM_.numbered_sgpr, max(33, .L_ZN7rocprim17ROCPRIM_400000_NS6detail18constexpr_for_implIZZNS1_11reduce_implILb1ENS0_14default_configEN6thrust23THRUST_200600_302600_NS11hip_rocprim26transform_input_iterator_tIfNS6_17counting_iteratorIiNS6_11use_defaultESA_SA_EE11estimate_piEEPffNS6_4plusIfEEEE10hipError_tPvRmT1_T2_T3_mT4_P12ihipStream_tbENUlT_E1_clINS1_13target_configIS4_NS1_22reduce_config_selectorIfEENS1_11comp_targetILNS1_3genE2ELNS1_11target_archE906ELNS1_3gpuE6ELNS1_3repE0EEELNS0_4arch9wavefront6targetE1EEEEEDaSQ_EUlSQ_E_TnDaLi0ETnDaLi1EJLm0ELm1ELm2ELm3ELm4ELm5EEEEvOSQ_St16integer_sequenceImJXspT2_EEE.numbered_sgpr)
	.set _ZN7rocprim17ROCPRIM_400000_NS6detail17trampoline_kernelINS0_14default_configENS1_22reduce_config_selectorIfEEZNS1_11reduce_implILb1ES3_N6thrust23THRUST_200600_302600_NS11hip_rocprim26transform_input_iterator_tIfNS8_17counting_iteratorIiNS8_11use_defaultESC_SC_EE11estimate_piEEPffNS8_4plusIfEEEE10hipError_tPvRmT1_T2_T3_mT4_P12ihipStream_tbEUlT_E1_NS1_11comp_targetILNS1_3genE2ELNS1_11target_archE906ELNS1_3gpuE6ELNS1_3repE0EEENS1_30default_config_static_selectorELNS0_4arch9wavefront6targetE1EEEvSM_.num_named_barrier, max(0, .L_ZN7rocprim17ROCPRIM_400000_NS6detail18constexpr_for_implIZZNS1_11reduce_implILb1ENS0_14default_configEN6thrust23THRUST_200600_302600_NS11hip_rocprim26transform_input_iterator_tIfNS6_17counting_iteratorIiNS6_11use_defaultESA_SA_EE11estimate_piEEPffNS6_4plusIfEEEE10hipError_tPvRmT1_T2_T3_mT4_P12ihipStream_tbENUlT_E1_clINS1_13target_configIS4_NS1_22reduce_config_selectorIfEENS1_11comp_targetILNS1_3genE2ELNS1_11target_archE906ELNS1_3gpuE6ELNS1_3repE0EEELNS0_4arch9wavefront6targetE1EEEEEDaSQ_EUlSQ_E_TnDaLi0ETnDaLi1EJLm0ELm1ELm2ELm3ELm4ELm5EEEEvOSQ_St16integer_sequenceImJXspT2_EEE.num_named_barrier)
	.set _ZN7rocprim17ROCPRIM_400000_NS6detail17trampoline_kernelINS0_14default_configENS1_22reduce_config_selectorIfEEZNS1_11reduce_implILb1ES3_N6thrust23THRUST_200600_302600_NS11hip_rocprim26transform_input_iterator_tIfNS8_17counting_iteratorIiNS8_11use_defaultESC_SC_EE11estimate_piEEPffNS8_4plusIfEEEE10hipError_tPvRmT1_T2_T3_mT4_P12ihipStream_tbEUlT_E1_NS1_11comp_targetILNS1_3genE2ELNS1_11target_archE906ELNS1_3gpuE6ELNS1_3repE0EEENS1_30default_config_static_selectorELNS0_4arch9wavefront6targetE1EEEvSM_.private_seg_size, 96+max(.L_ZN7rocprim17ROCPRIM_400000_NS6detail18constexpr_for_implIZZNS1_11reduce_implILb1ENS0_14default_configEN6thrust23THRUST_200600_302600_NS11hip_rocprim26transform_input_iterator_tIfNS6_17counting_iteratorIiNS6_11use_defaultESA_SA_EE11estimate_piEEPffNS6_4plusIfEEEE10hipError_tPvRmT1_T2_T3_mT4_P12ihipStream_tbENUlT_E1_clINS1_13target_configIS4_NS1_22reduce_config_selectorIfEENS1_11comp_targetILNS1_3genE2ELNS1_11target_archE906ELNS1_3gpuE6ELNS1_3repE0EEELNS0_4arch9wavefront6targetE1EEEEEDaSQ_EUlSQ_E_TnDaLi0ETnDaLi1EJLm0ELm1ELm2ELm3ELm4ELm5EEEEvOSQ_St16integer_sequenceImJXspT2_EEE.private_seg_size)
	.set _ZN7rocprim17ROCPRIM_400000_NS6detail17trampoline_kernelINS0_14default_configENS1_22reduce_config_selectorIfEEZNS1_11reduce_implILb1ES3_N6thrust23THRUST_200600_302600_NS11hip_rocprim26transform_input_iterator_tIfNS8_17counting_iteratorIiNS8_11use_defaultESC_SC_EE11estimate_piEEPffNS8_4plusIfEEEE10hipError_tPvRmT1_T2_T3_mT4_P12ihipStream_tbEUlT_E1_NS1_11comp_targetILNS1_3genE2ELNS1_11target_archE906ELNS1_3gpuE6ELNS1_3repE0EEENS1_30default_config_static_selectorELNS0_4arch9wavefront6targetE1EEEvSM_.uses_vcc, or(1, .L_ZN7rocprim17ROCPRIM_400000_NS6detail18constexpr_for_implIZZNS1_11reduce_implILb1ENS0_14default_configEN6thrust23THRUST_200600_302600_NS11hip_rocprim26transform_input_iterator_tIfNS6_17counting_iteratorIiNS6_11use_defaultESA_SA_EE11estimate_piEEPffNS6_4plusIfEEEE10hipError_tPvRmT1_T2_T3_mT4_P12ihipStream_tbENUlT_E1_clINS1_13target_configIS4_NS1_22reduce_config_selectorIfEENS1_11comp_targetILNS1_3genE2ELNS1_11target_archE906ELNS1_3gpuE6ELNS1_3repE0EEELNS0_4arch9wavefront6targetE1EEEEEDaSQ_EUlSQ_E_TnDaLi0ETnDaLi1EJLm0ELm1ELm2ELm3ELm4ELm5EEEEvOSQ_St16integer_sequenceImJXspT2_EEE.uses_vcc)
	.set _ZN7rocprim17ROCPRIM_400000_NS6detail17trampoline_kernelINS0_14default_configENS1_22reduce_config_selectorIfEEZNS1_11reduce_implILb1ES3_N6thrust23THRUST_200600_302600_NS11hip_rocprim26transform_input_iterator_tIfNS8_17counting_iteratorIiNS8_11use_defaultESC_SC_EE11estimate_piEEPffNS8_4plusIfEEEE10hipError_tPvRmT1_T2_T3_mT4_P12ihipStream_tbEUlT_E1_NS1_11comp_targetILNS1_3genE2ELNS1_11target_archE906ELNS1_3gpuE6ELNS1_3repE0EEENS1_30default_config_static_selectorELNS0_4arch9wavefront6targetE1EEEvSM_.uses_flat_scratch, or(1, .L_ZN7rocprim17ROCPRIM_400000_NS6detail18constexpr_for_implIZZNS1_11reduce_implILb1ENS0_14default_configEN6thrust23THRUST_200600_302600_NS11hip_rocprim26transform_input_iterator_tIfNS6_17counting_iteratorIiNS6_11use_defaultESA_SA_EE11estimate_piEEPffNS6_4plusIfEEEE10hipError_tPvRmT1_T2_T3_mT4_P12ihipStream_tbENUlT_E1_clINS1_13target_configIS4_NS1_22reduce_config_selectorIfEENS1_11comp_targetILNS1_3genE2ELNS1_11target_archE906ELNS1_3gpuE6ELNS1_3repE0EEELNS0_4arch9wavefront6targetE1EEEEEDaSQ_EUlSQ_E_TnDaLi0ETnDaLi1EJLm0ELm1ELm2ELm3ELm4ELm5EEEEvOSQ_St16integer_sequenceImJXspT2_EEE.uses_flat_scratch)
	.set _ZN7rocprim17ROCPRIM_400000_NS6detail17trampoline_kernelINS0_14default_configENS1_22reduce_config_selectorIfEEZNS1_11reduce_implILb1ES3_N6thrust23THRUST_200600_302600_NS11hip_rocprim26transform_input_iterator_tIfNS8_17counting_iteratorIiNS8_11use_defaultESC_SC_EE11estimate_piEEPffNS8_4plusIfEEEE10hipError_tPvRmT1_T2_T3_mT4_P12ihipStream_tbEUlT_E1_NS1_11comp_targetILNS1_3genE2ELNS1_11target_archE906ELNS1_3gpuE6ELNS1_3repE0EEENS1_30default_config_static_selectorELNS0_4arch9wavefront6targetE1EEEvSM_.has_dyn_sized_stack, or(0, .L_ZN7rocprim17ROCPRIM_400000_NS6detail18constexpr_for_implIZZNS1_11reduce_implILb1ENS0_14default_configEN6thrust23THRUST_200600_302600_NS11hip_rocprim26transform_input_iterator_tIfNS6_17counting_iteratorIiNS6_11use_defaultESA_SA_EE11estimate_piEEPffNS6_4plusIfEEEE10hipError_tPvRmT1_T2_T3_mT4_P12ihipStream_tbENUlT_E1_clINS1_13target_configIS4_NS1_22reduce_config_selectorIfEENS1_11comp_targetILNS1_3genE2ELNS1_11target_archE906ELNS1_3gpuE6ELNS1_3repE0EEELNS0_4arch9wavefront6targetE1EEEEEDaSQ_EUlSQ_E_TnDaLi0ETnDaLi1EJLm0ELm1ELm2ELm3ELm4ELm5EEEEvOSQ_St16integer_sequenceImJXspT2_EEE.has_dyn_sized_stack)
	.set _ZN7rocprim17ROCPRIM_400000_NS6detail17trampoline_kernelINS0_14default_configENS1_22reduce_config_selectorIfEEZNS1_11reduce_implILb1ES3_N6thrust23THRUST_200600_302600_NS11hip_rocprim26transform_input_iterator_tIfNS8_17counting_iteratorIiNS8_11use_defaultESC_SC_EE11estimate_piEEPffNS8_4plusIfEEEE10hipError_tPvRmT1_T2_T3_mT4_P12ihipStream_tbEUlT_E1_NS1_11comp_targetILNS1_3genE2ELNS1_11target_archE906ELNS1_3gpuE6ELNS1_3repE0EEENS1_30default_config_static_selectorELNS0_4arch9wavefront6targetE1EEEvSM_.has_recursion, or(0, .L_ZN7rocprim17ROCPRIM_400000_NS6detail18constexpr_for_implIZZNS1_11reduce_implILb1ENS0_14default_configEN6thrust23THRUST_200600_302600_NS11hip_rocprim26transform_input_iterator_tIfNS6_17counting_iteratorIiNS6_11use_defaultESA_SA_EE11estimate_piEEPffNS6_4plusIfEEEE10hipError_tPvRmT1_T2_T3_mT4_P12ihipStream_tbENUlT_E1_clINS1_13target_configIS4_NS1_22reduce_config_selectorIfEENS1_11comp_targetILNS1_3genE2ELNS1_11target_archE906ELNS1_3gpuE6ELNS1_3repE0EEELNS0_4arch9wavefront6targetE1EEEEEDaSQ_EUlSQ_E_TnDaLi0ETnDaLi1EJLm0ELm1ELm2ELm3ELm4ELm5EEEEvOSQ_St16integer_sequenceImJXspT2_EEE.has_recursion)
	.set _ZN7rocprim17ROCPRIM_400000_NS6detail17trampoline_kernelINS0_14default_configENS1_22reduce_config_selectorIfEEZNS1_11reduce_implILb1ES3_N6thrust23THRUST_200600_302600_NS11hip_rocprim26transform_input_iterator_tIfNS8_17counting_iteratorIiNS8_11use_defaultESC_SC_EE11estimate_piEEPffNS8_4plusIfEEEE10hipError_tPvRmT1_T2_T3_mT4_P12ihipStream_tbEUlT_E1_NS1_11comp_targetILNS1_3genE2ELNS1_11target_archE906ELNS1_3gpuE6ELNS1_3repE0EEENS1_30default_config_static_selectorELNS0_4arch9wavefront6targetE1EEEvSM_.has_indirect_call, or(0, .L_ZN7rocprim17ROCPRIM_400000_NS6detail18constexpr_for_implIZZNS1_11reduce_implILb1ENS0_14default_configEN6thrust23THRUST_200600_302600_NS11hip_rocprim26transform_input_iterator_tIfNS6_17counting_iteratorIiNS6_11use_defaultESA_SA_EE11estimate_piEEPffNS6_4plusIfEEEE10hipError_tPvRmT1_T2_T3_mT4_P12ihipStream_tbENUlT_E1_clINS1_13target_configIS4_NS1_22reduce_config_selectorIfEENS1_11comp_targetILNS1_3genE2ELNS1_11target_archE906ELNS1_3gpuE6ELNS1_3repE0EEELNS0_4arch9wavefront6targetE1EEEEEDaSQ_EUlSQ_E_TnDaLi0ETnDaLi1EJLm0ELm1ELm2ELm3ELm4ELm5EEEEvOSQ_St16integer_sequenceImJXspT2_EEE.has_indirect_call)
	.section	.AMDGPU.csdata,"",@progbits
; Kernel info:
; codeLenInByte = 440
; TotalNumSgprs: 102
; NumVgprs: 84
; ScratchSize: 104
; MemoryBound: 0
; FloatMode: 240
; IeeeMode: 1
; LDSByteSize: 112 bytes/workgroup (compile time only)
; SGPRBlocks: 12
; VGPRBlocks: 20
; NumSGPRsForWavesPerEU: 102
; NumVGPRsForWavesPerEU: 84
; Occupancy: 3
; WaveLimiterHint : 1
; COMPUTE_PGM_RSRC2:SCRATCH_EN: 1
; COMPUTE_PGM_RSRC2:USER_SGPR: 8
; COMPUTE_PGM_RSRC2:TRAP_HANDLER: 0
; COMPUTE_PGM_RSRC2:TGID_X_EN: 1
; COMPUTE_PGM_RSRC2:TGID_Y_EN: 0
; COMPUTE_PGM_RSRC2:TGID_Z_EN: 0
; COMPUTE_PGM_RSRC2:TIDIG_COMP_CNT: 0
	.section	.text._ZN7rocprim17ROCPRIM_400000_NS6detail17trampoline_kernelINS0_14default_configENS1_22reduce_config_selectorIfEEZNS1_11reduce_implILb1ES3_N6thrust23THRUST_200600_302600_NS11hip_rocprim26transform_input_iterator_tIfNS8_17counting_iteratorIiNS8_11use_defaultESC_SC_EE11estimate_piEEPffNS8_4plusIfEEEE10hipError_tPvRmT1_T2_T3_mT4_P12ihipStream_tbEUlT_E1_NS1_11comp_targetILNS1_3genE10ELNS1_11target_archE1201ELNS1_3gpuE5ELNS1_3repE0EEENS1_30default_config_static_selectorELNS0_4arch9wavefront6targetE1EEEvSM_,"axG",@progbits,_ZN7rocprim17ROCPRIM_400000_NS6detail17trampoline_kernelINS0_14default_configENS1_22reduce_config_selectorIfEEZNS1_11reduce_implILb1ES3_N6thrust23THRUST_200600_302600_NS11hip_rocprim26transform_input_iterator_tIfNS8_17counting_iteratorIiNS8_11use_defaultESC_SC_EE11estimate_piEEPffNS8_4plusIfEEEE10hipError_tPvRmT1_T2_T3_mT4_P12ihipStream_tbEUlT_E1_NS1_11comp_targetILNS1_3genE10ELNS1_11target_archE1201ELNS1_3gpuE5ELNS1_3repE0EEENS1_30default_config_static_selectorELNS0_4arch9wavefront6targetE1EEEvSM_,comdat
	.protected	_ZN7rocprim17ROCPRIM_400000_NS6detail17trampoline_kernelINS0_14default_configENS1_22reduce_config_selectorIfEEZNS1_11reduce_implILb1ES3_N6thrust23THRUST_200600_302600_NS11hip_rocprim26transform_input_iterator_tIfNS8_17counting_iteratorIiNS8_11use_defaultESC_SC_EE11estimate_piEEPffNS8_4plusIfEEEE10hipError_tPvRmT1_T2_T3_mT4_P12ihipStream_tbEUlT_E1_NS1_11comp_targetILNS1_3genE10ELNS1_11target_archE1201ELNS1_3gpuE5ELNS1_3repE0EEENS1_30default_config_static_selectorELNS0_4arch9wavefront6targetE1EEEvSM_ ; -- Begin function _ZN7rocprim17ROCPRIM_400000_NS6detail17trampoline_kernelINS0_14default_configENS1_22reduce_config_selectorIfEEZNS1_11reduce_implILb1ES3_N6thrust23THRUST_200600_302600_NS11hip_rocprim26transform_input_iterator_tIfNS8_17counting_iteratorIiNS8_11use_defaultESC_SC_EE11estimate_piEEPffNS8_4plusIfEEEE10hipError_tPvRmT1_T2_T3_mT4_P12ihipStream_tbEUlT_E1_NS1_11comp_targetILNS1_3genE10ELNS1_11target_archE1201ELNS1_3gpuE5ELNS1_3repE0EEENS1_30default_config_static_selectorELNS0_4arch9wavefront6targetE1EEEvSM_
	.globl	_ZN7rocprim17ROCPRIM_400000_NS6detail17trampoline_kernelINS0_14default_configENS1_22reduce_config_selectorIfEEZNS1_11reduce_implILb1ES3_N6thrust23THRUST_200600_302600_NS11hip_rocprim26transform_input_iterator_tIfNS8_17counting_iteratorIiNS8_11use_defaultESC_SC_EE11estimate_piEEPffNS8_4plusIfEEEE10hipError_tPvRmT1_T2_T3_mT4_P12ihipStream_tbEUlT_E1_NS1_11comp_targetILNS1_3genE10ELNS1_11target_archE1201ELNS1_3gpuE5ELNS1_3repE0EEENS1_30default_config_static_selectorELNS0_4arch9wavefront6targetE1EEEvSM_
	.p2align	8
	.type	_ZN7rocprim17ROCPRIM_400000_NS6detail17trampoline_kernelINS0_14default_configENS1_22reduce_config_selectorIfEEZNS1_11reduce_implILb1ES3_N6thrust23THRUST_200600_302600_NS11hip_rocprim26transform_input_iterator_tIfNS8_17counting_iteratorIiNS8_11use_defaultESC_SC_EE11estimate_piEEPffNS8_4plusIfEEEE10hipError_tPvRmT1_T2_T3_mT4_P12ihipStream_tbEUlT_E1_NS1_11comp_targetILNS1_3genE10ELNS1_11target_archE1201ELNS1_3gpuE5ELNS1_3repE0EEENS1_30default_config_static_selectorELNS0_4arch9wavefront6targetE1EEEvSM_,@function
_ZN7rocprim17ROCPRIM_400000_NS6detail17trampoline_kernelINS0_14default_configENS1_22reduce_config_selectorIfEEZNS1_11reduce_implILb1ES3_N6thrust23THRUST_200600_302600_NS11hip_rocprim26transform_input_iterator_tIfNS8_17counting_iteratorIiNS8_11use_defaultESC_SC_EE11estimate_piEEPffNS8_4plusIfEEEE10hipError_tPvRmT1_T2_T3_mT4_P12ihipStream_tbEUlT_E1_NS1_11comp_targetILNS1_3genE10ELNS1_11target_archE1201ELNS1_3gpuE5ELNS1_3repE0EEENS1_30default_config_static_selectorELNS0_4arch9wavefront6targetE1EEEvSM_: ; @_ZN7rocprim17ROCPRIM_400000_NS6detail17trampoline_kernelINS0_14default_configENS1_22reduce_config_selectorIfEEZNS1_11reduce_implILb1ES3_N6thrust23THRUST_200600_302600_NS11hip_rocprim26transform_input_iterator_tIfNS8_17counting_iteratorIiNS8_11use_defaultESC_SC_EE11estimate_piEEPffNS8_4plusIfEEEE10hipError_tPvRmT1_T2_T3_mT4_P12ihipStream_tbEUlT_E1_NS1_11comp_targetILNS1_3genE10ELNS1_11target_archE1201ELNS1_3gpuE5ELNS1_3repE0EEENS1_30default_config_static_selectorELNS0_4arch9wavefront6targetE1EEEvSM_
; %bb.0:
	.section	.rodata,"a",@progbits
	.p2align	6, 0x0
	.amdhsa_kernel _ZN7rocprim17ROCPRIM_400000_NS6detail17trampoline_kernelINS0_14default_configENS1_22reduce_config_selectorIfEEZNS1_11reduce_implILb1ES3_N6thrust23THRUST_200600_302600_NS11hip_rocprim26transform_input_iterator_tIfNS8_17counting_iteratorIiNS8_11use_defaultESC_SC_EE11estimate_piEEPffNS8_4plusIfEEEE10hipError_tPvRmT1_T2_T3_mT4_P12ihipStream_tbEUlT_E1_NS1_11comp_targetILNS1_3genE10ELNS1_11target_archE1201ELNS1_3gpuE5ELNS1_3repE0EEENS1_30default_config_static_selectorELNS0_4arch9wavefront6targetE1EEEvSM_
		.amdhsa_group_segment_fixed_size 0
		.amdhsa_private_segment_fixed_size 0
		.amdhsa_kernarg_size 40
		.amdhsa_user_sgpr_count 6
		.amdhsa_user_sgpr_private_segment_buffer 1
		.amdhsa_user_sgpr_dispatch_ptr 0
		.amdhsa_user_sgpr_queue_ptr 0
		.amdhsa_user_sgpr_kernarg_segment_ptr 1
		.amdhsa_user_sgpr_dispatch_id 0
		.amdhsa_user_sgpr_flat_scratch_init 0
		.amdhsa_user_sgpr_private_segment_size 0
		.amdhsa_uses_dynamic_stack 0
		.amdhsa_system_sgpr_private_segment_wavefront_offset 0
		.amdhsa_system_sgpr_workgroup_id_x 1
		.amdhsa_system_sgpr_workgroup_id_y 0
		.amdhsa_system_sgpr_workgroup_id_z 0
		.amdhsa_system_sgpr_workgroup_info 0
		.amdhsa_system_vgpr_workitem_id 0
		.amdhsa_next_free_vgpr 1
		.amdhsa_next_free_sgpr 0
		.amdhsa_reserve_vcc 0
		.amdhsa_reserve_flat_scratch 0
		.amdhsa_float_round_mode_32 0
		.amdhsa_float_round_mode_16_64 0
		.amdhsa_float_denorm_mode_32 3
		.amdhsa_float_denorm_mode_16_64 3
		.amdhsa_dx10_clamp 1
		.amdhsa_ieee_mode 1
		.amdhsa_fp16_overflow 0
		.amdhsa_exception_fp_ieee_invalid_op 0
		.amdhsa_exception_fp_denorm_src 0
		.amdhsa_exception_fp_ieee_div_zero 0
		.amdhsa_exception_fp_ieee_overflow 0
		.amdhsa_exception_fp_ieee_underflow 0
		.amdhsa_exception_fp_ieee_inexact 0
		.amdhsa_exception_int_div_zero 0
	.end_amdhsa_kernel
	.section	.text._ZN7rocprim17ROCPRIM_400000_NS6detail17trampoline_kernelINS0_14default_configENS1_22reduce_config_selectorIfEEZNS1_11reduce_implILb1ES3_N6thrust23THRUST_200600_302600_NS11hip_rocprim26transform_input_iterator_tIfNS8_17counting_iteratorIiNS8_11use_defaultESC_SC_EE11estimate_piEEPffNS8_4plusIfEEEE10hipError_tPvRmT1_T2_T3_mT4_P12ihipStream_tbEUlT_E1_NS1_11comp_targetILNS1_3genE10ELNS1_11target_archE1201ELNS1_3gpuE5ELNS1_3repE0EEENS1_30default_config_static_selectorELNS0_4arch9wavefront6targetE1EEEvSM_,"axG",@progbits,_ZN7rocprim17ROCPRIM_400000_NS6detail17trampoline_kernelINS0_14default_configENS1_22reduce_config_selectorIfEEZNS1_11reduce_implILb1ES3_N6thrust23THRUST_200600_302600_NS11hip_rocprim26transform_input_iterator_tIfNS8_17counting_iteratorIiNS8_11use_defaultESC_SC_EE11estimate_piEEPffNS8_4plusIfEEEE10hipError_tPvRmT1_T2_T3_mT4_P12ihipStream_tbEUlT_E1_NS1_11comp_targetILNS1_3genE10ELNS1_11target_archE1201ELNS1_3gpuE5ELNS1_3repE0EEENS1_30default_config_static_selectorELNS0_4arch9wavefront6targetE1EEEvSM_,comdat
.Lfunc_end33:
	.size	_ZN7rocprim17ROCPRIM_400000_NS6detail17trampoline_kernelINS0_14default_configENS1_22reduce_config_selectorIfEEZNS1_11reduce_implILb1ES3_N6thrust23THRUST_200600_302600_NS11hip_rocprim26transform_input_iterator_tIfNS8_17counting_iteratorIiNS8_11use_defaultESC_SC_EE11estimate_piEEPffNS8_4plusIfEEEE10hipError_tPvRmT1_T2_T3_mT4_P12ihipStream_tbEUlT_E1_NS1_11comp_targetILNS1_3genE10ELNS1_11target_archE1201ELNS1_3gpuE5ELNS1_3repE0EEENS1_30default_config_static_selectorELNS0_4arch9wavefront6targetE1EEEvSM_, .Lfunc_end33-_ZN7rocprim17ROCPRIM_400000_NS6detail17trampoline_kernelINS0_14default_configENS1_22reduce_config_selectorIfEEZNS1_11reduce_implILb1ES3_N6thrust23THRUST_200600_302600_NS11hip_rocprim26transform_input_iterator_tIfNS8_17counting_iteratorIiNS8_11use_defaultESC_SC_EE11estimate_piEEPffNS8_4plusIfEEEE10hipError_tPvRmT1_T2_T3_mT4_P12ihipStream_tbEUlT_E1_NS1_11comp_targetILNS1_3genE10ELNS1_11target_archE1201ELNS1_3gpuE5ELNS1_3repE0EEENS1_30default_config_static_selectorELNS0_4arch9wavefront6targetE1EEEvSM_
                                        ; -- End function
	.set _ZN7rocprim17ROCPRIM_400000_NS6detail17trampoline_kernelINS0_14default_configENS1_22reduce_config_selectorIfEEZNS1_11reduce_implILb1ES3_N6thrust23THRUST_200600_302600_NS11hip_rocprim26transform_input_iterator_tIfNS8_17counting_iteratorIiNS8_11use_defaultESC_SC_EE11estimate_piEEPffNS8_4plusIfEEEE10hipError_tPvRmT1_T2_T3_mT4_P12ihipStream_tbEUlT_E1_NS1_11comp_targetILNS1_3genE10ELNS1_11target_archE1201ELNS1_3gpuE5ELNS1_3repE0EEENS1_30default_config_static_selectorELNS0_4arch9wavefront6targetE1EEEvSM_.num_vgpr, 0
	.set _ZN7rocprim17ROCPRIM_400000_NS6detail17trampoline_kernelINS0_14default_configENS1_22reduce_config_selectorIfEEZNS1_11reduce_implILb1ES3_N6thrust23THRUST_200600_302600_NS11hip_rocprim26transform_input_iterator_tIfNS8_17counting_iteratorIiNS8_11use_defaultESC_SC_EE11estimate_piEEPffNS8_4plusIfEEEE10hipError_tPvRmT1_T2_T3_mT4_P12ihipStream_tbEUlT_E1_NS1_11comp_targetILNS1_3genE10ELNS1_11target_archE1201ELNS1_3gpuE5ELNS1_3repE0EEENS1_30default_config_static_selectorELNS0_4arch9wavefront6targetE1EEEvSM_.num_agpr, 0
	.set _ZN7rocprim17ROCPRIM_400000_NS6detail17trampoline_kernelINS0_14default_configENS1_22reduce_config_selectorIfEEZNS1_11reduce_implILb1ES3_N6thrust23THRUST_200600_302600_NS11hip_rocprim26transform_input_iterator_tIfNS8_17counting_iteratorIiNS8_11use_defaultESC_SC_EE11estimate_piEEPffNS8_4plusIfEEEE10hipError_tPvRmT1_T2_T3_mT4_P12ihipStream_tbEUlT_E1_NS1_11comp_targetILNS1_3genE10ELNS1_11target_archE1201ELNS1_3gpuE5ELNS1_3repE0EEENS1_30default_config_static_selectorELNS0_4arch9wavefront6targetE1EEEvSM_.numbered_sgpr, 0
	.set _ZN7rocprim17ROCPRIM_400000_NS6detail17trampoline_kernelINS0_14default_configENS1_22reduce_config_selectorIfEEZNS1_11reduce_implILb1ES3_N6thrust23THRUST_200600_302600_NS11hip_rocprim26transform_input_iterator_tIfNS8_17counting_iteratorIiNS8_11use_defaultESC_SC_EE11estimate_piEEPffNS8_4plusIfEEEE10hipError_tPvRmT1_T2_T3_mT4_P12ihipStream_tbEUlT_E1_NS1_11comp_targetILNS1_3genE10ELNS1_11target_archE1201ELNS1_3gpuE5ELNS1_3repE0EEENS1_30default_config_static_selectorELNS0_4arch9wavefront6targetE1EEEvSM_.num_named_barrier, 0
	.set _ZN7rocprim17ROCPRIM_400000_NS6detail17trampoline_kernelINS0_14default_configENS1_22reduce_config_selectorIfEEZNS1_11reduce_implILb1ES3_N6thrust23THRUST_200600_302600_NS11hip_rocprim26transform_input_iterator_tIfNS8_17counting_iteratorIiNS8_11use_defaultESC_SC_EE11estimate_piEEPffNS8_4plusIfEEEE10hipError_tPvRmT1_T2_T3_mT4_P12ihipStream_tbEUlT_E1_NS1_11comp_targetILNS1_3genE10ELNS1_11target_archE1201ELNS1_3gpuE5ELNS1_3repE0EEENS1_30default_config_static_selectorELNS0_4arch9wavefront6targetE1EEEvSM_.private_seg_size, 0
	.set _ZN7rocprim17ROCPRIM_400000_NS6detail17trampoline_kernelINS0_14default_configENS1_22reduce_config_selectorIfEEZNS1_11reduce_implILb1ES3_N6thrust23THRUST_200600_302600_NS11hip_rocprim26transform_input_iterator_tIfNS8_17counting_iteratorIiNS8_11use_defaultESC_SC_EE11estimate_piEEPffNS8_4plusIfEEEE10hipError_tPvRmT1_T2_T3_mT4_P12ihipStream_tbEUlT_E1_NS1_11comp_targetILNS1_3genE10ELNS1_11target_archE1201ELNS1_3gpuE5ELNS1_3repE0EEENS1_30default_config_static_selectorELNS0_4arch9wavefront6targetE1EEEvSM_.uses_vcc, 0
	.set _ZN7rocprim17ROCPRIM_400000_NS6detail17trampoline_kernelINS0_14default_configENS1_22reduce_config_selectorIfEEZNS1_11reduce_implILb1ES3_N6thrust23THRUST_200600_302600_NS11hip_rocprim26transform_input_iterator_tIfNS8_17counting_iteratorIiNS8_11use_defaultESC_SC_EE11estimate_piEEPffNS8_4plusIfEEEE10hipError_tPvRmT1_T2_T3_mT4_P12ihipStream_tbEUlT_E1_NS1_11comp_targetILNS1_3genE10ELNS1_11target_archE1201ELNS1_3gpuE5ELNS1_3repE0EEENS1_30default_config_static_selectorELNS0_4arch9wavefront6targetE1EEEvSM_.uses_flat_scratch, 0
	.set _ZN7rocprim17ROCPRIM_400000_NS6detail17trampoline_kernelINS0_14default_configENS1_22reduce_config_selectorIfEEZNS1_11reduce_implILb1ES3_N6thrust23THRUST_200600_302600_NS11hip_rocprim26transform_input_iterator_tIfNS8_17counting_iteratorIiNS8_11use_defaultESC_SC_EE11estimate_piEEPffNS8_4plusIfEEEE10hipError_tPvRmT1_T2_T3_mT4_P12ihipStream_tbEUlT_E1_NS1_11comp_targetILNS1_3genE10ELNS1_11target_archE1201ELNS1_3gpuE5ELNS1_3repE0EEENS1_30default_config_static_selectorELNS0_4arch9wavefront6targetE1EEEvSM_.has_dyn_sized_stack, 0
	.set _ZN7rocprim17ROCPRIM_400000_NS6detail17trampoline_kernelINS0_14default_configENS1_22reduce_config_selectorIfEEZNS1_11reduce_implILb1ES3_N6thrust23THRUST_200600_302600_NS11hip_rocprim26transform_input_iterator_tIfNS8_17counting_iteratorIiNS8_11use_defaultESC_SC_EE11estimate_piEEPffNS8_4plusIfEEEE10hipError_tPvRmT1_T2_T3_mT4_P12ihipStream_tbEUlT_E1_NS1_11comp_targetILNS1_3genE10ELNS1_11target_archE1201ELNS1_3gpuE5ELNS1_3repE0EEENS1_30default_config_static_selectorELNS0_4arch9wavefront6targetE1EEEvSM_.has_recursion, 0
	.set _ZN7rocprim17ROCPRIM_400000_NS6detail17trampoline_kernelINS0_14default_configENS1_22reduce_config_selectorIfEEZNS1_11reduce_implILb1ES3_N6thrust23THRUST_200600_302600_NS11hip_rocprim26transform_input_iterator_tIfNS8_17counting_iteratorIiNS8_11use_defaultESC_SC_EE11estimate_piEEPffNS8_4plusIfEEEE10hipError_tPvRmT1_T2_T3_mT4_P12ihipStream_tbEUlT_E1_NS1_11comp_targetILNS1_3genE10ELNS1_11target_archE1201ELNS1_3gpuE5ELNS1_3repE0EEENS1_30default_config_static_selectorELNS0_4arch9wavefront6targetE1EEEvSM_.has_indirect_call, 0
	.section	.AMDGPU.csdata,"",@progbits
; Kernel info:
; codeLenInByte = 0
; TotalNumSgprs: 4
; NumVgprs: 0
; ScratchSize: 0
; MemoryBound: 0
; FloatMode: 240
; IeeeMode: 1
; LDSByteSize: 0 bytes/workgroup (compile time only)
; SGPRBlocks: 0
; VGPRBlocks: 0
; NumSGPRsForWavesPerEU: 4
; NumVGPRsForWavesPerEU: 1
; Occupancy: 10
; WaveLimiterHint : 0
; COMPUTE_PGM_RSRC2:SCRATCH_EN: 0
; COMPUTE_PGM_RSRC2:USER_SGPR: 6
; COMPUTE_PGM_RSRC2:TRAP_HANDLER: 0
; COMPUTE_PGM_RSRC2:TGID_X_EN: 1
; COMPUTE_PGM_RSRC2:TGID_Y_EN: 0
; COMPUTE_PGM_RSRC2:TGID_Z_EN: 0
; COMPUTE_PGM_RSRC2:TIDIG_COMP_CNT: 0
	.section	.text._ZN7rocprim17ROCPRIM_400000_NS6detail17trampoline_kernelINS0_14default_configENS1_22reduce_config_selectorIfEEZNS1_11reduce_implILb1ES3_N6thrust23THRUST_200600_302600_NS11hip_rocprim26transform_input_iterator_tIfNS8_17counting_iteratorIiNS8_11use_defaultESC_SC_EE11estimate_piEEPffNS8_4plusIfEEEE10hipError_tPvRmT1_T2_T3_mT4_P12ihipStream_tbEUlT_E1_NS1_11comp_targetILNS1_3genE10ELNS1_11target_archE1200ELNS1_3gpuE4ELNS1_3repE0EEENS1_30default_config_static_selectorELNS0_4arch9wavefront6targetE1EEEvSM_,"axG",@progbits,_ZN7rocprim17ROCPRIM_400000_NS6detail17trampoline_kernelINS0_14default_configENS1_22reduce_config_selectorIfEEZNS1_11reduce_implILb1ES3_N6thrust23THRUST_200600_302600_NS11hip_rocprim26transform_input_iterator_tIfNS8_17counting_iteratorIiNS8_11use_defaultESC_SC_EE11estimate_piEEPffNS8_4plusIfEEEE10hipError_tPvRmT1_T2_T3_mT4_P12ihipStream_tbEUlT_E1_NS1_11comp_targetILNS1_3genE10ELNS1_11target_archE1200ELNS1_3gpuE4ELNS1_3repE0EEENS1_30default_config_static_selectorELNS0_4arch9wavefront6targetE1EEEvSM_,comdat
	.protected	_ZN7rocprim17ROCPRIM_400000_NS6detail17trampoline_kernelINS0_14default_configENS1_22reduce_config_selectorIfEEZNS1_11reduce_implILb1ES3_N6thrust23THRUST_200600_302600_NS11hip_rocprim26transform_input_iterator_tIfNS8_17counting_iteratorIiNS8_11use_defaultESC_SC_EE11estimate_piEEPffNS8_4plusIfEEEE10hipError_tPvRmT1_T2_T3_mT4_P12ihipStream_tbEUlT_E1_NS1_11comp_targetILNS1_3genE10ELNS1_11target_archE1200ELNS1_3gpuE4ELNS1_3repE0EEENS1_30default_config_static_selectorELNS0_4arch9wavefront6targetE1EEEvSM_ ; -- Begin function _ZN7rocprim17ROCPRIM_400000_NS6detail17trampoline_kernelINS0_14default_configENS1_22reduce_config_selectorIfEEZNS1_11reduce_implILb1ES3_N6thrust23THRUST_200600_302600_NS11hip_rocprim26transform_input_iterator_tIfNS8_17counting_iteratorIiNS8_11use_defaultESC_SC_EE11estimate_piEEPffNS8_4plusIfEEEE10hipError_tPvRmT1_T2_T3_mT4_P12ihipStream_tbEUlT_E1_NS1_11comp_targetILNS1_3genE10ELNS1_11target_archE1200ELNS1_3gpuE4ELNS1_3repE0EEENS1_30default_config_static_selectorELNS0_4arch9wavefront6targetE1EEEvSM_
	.globl	_ZN7rocprim17ROCPRIM_400000_NS6detail17trampoline_kernelINS0_14default_configENS1_22reduce_config_selectorIfEEZNS1_11reduce_implILb1ES3_N6thrust23THRUST_200600_302600_NS11hip_rocprim26transform_input_iterator_tIfNS8_17counting_iteratorIiNS8_11use_defaultESC_SC_EE11estimate_piEEPffNS8_4plusIfEEEE10hipError_tPvRmT1_T2_T3_mT4_P12ihipStream_tbEUlT_E1_NS1_11comp_targetILNS1_3genE10ELNS1_11target_archE1200ELNS1_3gpuE4ELNS1_3repE0EEENS1_30default_config_static_selectorELNS0_4arch9wavefront6targetE1EEEvSM_
	.p2align	8
	.type	_ZN7rocprim17ROCPRIM_400000_NS6detail17trampoline_kernelINS0_14default_configENS1_22reduce_config_selectorIfEEZNS1_11reduce_implILb1ES3_N6thrust23THRUST_200600_302600_NS11hip_rocprim26transform_input_iterator_tIfNS8_17counting_iteratorIiNS8_11use_defaultESC_SC_EE11estimate_piEEPffNS8_4plusIfEEEE10hipError_tPvRmT1_T2_T3_mT4_P12ihipStream_tbEUlT_E1_NS1_11comp_targetILNS1_3genE10ELNS1_11target_archE1200ELNS1_3gpuE4ELNS1_3repE0EEENS1_30default_config_static_selectorELNS0_4arch9wavefront6targetE1EEEvSM_,@function
_ZN7rocprim17ROCPRIM_400000_NS6detail17trampoline_kernelINS0_14default_configENS1_22reduce_config_selectorIfEEZNS1_11reduce_implILb1ES3_N6thrust23THRUST_200600_302600_NS11hip_rocprim26transform_input_iterator_tIfNS8_17counting_iteratorIiNS8_11use_defaultESC_SC_EE11estimate_piEEPffNS8_4plusIfEEEE10hipError_tPvRmT1_T2_T3_mT4_P12ihipStream_tbEUlT_E1_NS1_11comp_targetILNS1_3genE10ELNS1_11target_archE1200ELNS1_3gpuE4ELNS1_3repE0EEENS1_30default_config_static_selectorELNS0_4arch9wavefront6targetE1EEEvSM_: ; @_ZN7rocprim17ROCPRIM_400000_NS6detail17trampoline_kernelINS0_14default_configENS1_22reduce_config_selectorIfEEZNS1_11reduce_implILb1ES3_N6thrust23THRUST_200600_302600_NS11hip_rocprim26transform_input_iterator_tIfNS8_17counting_iteratorIiNS8_11use_defaultESC_SC_EE11estimate_piEEPffNS8_4plusIfEEEE10hipError_tPvRmT1_T2_T3_mT4_P12ihipStream_tbEUlT_E1_NS1_11comp_targetILNS1_3genE10ELNS1_11target_archE1200ELNS1_3gpuE4ELNS1_3repE0EEENS1_30default_config_static_selectorELNS0_4arch9wavefront6targetE1EEEvSM_
; %bb.0:
	.section	.rodata,"a",@progbits
	.p2align	6, 0x0
	.amdhsa_kernel _ZN7rocprim17ROCPRIM_400000_NS6detail17trampoline_kernelINS0_14default_configENS1_22reduce_config_selectorIfEEZNS1_11reduce_implILb1ES3_N6thrust23THRUST_200600_302600_NS11hip_rocprim26transform_input_iterator_tIfNS8_17counting_iteratorIiNS8_11use_defaultESC_SC_EE11estimate_piEEPffNS8_4plusIfEEEE10hipError_tPvRmT1_T2_T3_mT4_P12ihipStream_tbEUlT_E1_NS1_11comp_targetILNS1_3genE10ELNS1_11target_archE1200ELNS1_3gpuE4ELNS1_3repE0EEENS1_30default_config_static_selectorELNS0_4arch9wavefront6targetE1EEEvSM_
		.amdhsa_group_segment_fixed_size 0
		.amdhsa_private_segment_fixed_size 0
		.amdhsa_kernarg_size 40
		.amdhsa_user_sgpr_count 6
		.amdhsa_user_sgpr_private_segment_buffer 1
		.amdhsa_user_sgpr_dispatch_ptr 0
		.amdhsa_user_sgpr_queue_ptr 0
		.amdhsa_user_sgpr_kernarg_segment_ptr 1
		.amdhsa_user_sgpr_dispatch_id 0
		.amdhsa_user_sgpr_flat_scratch_init 0
		.amdhsa_user_sgpr_private_segment_size 0
		.amdhsa_uses_dynamic_stack 0
		.amdhsa_system_sgpr_private_segment_wavefront_offset 0
		.amdhsa_system_sgpr_workgroup_id_x 1
		.amdhsa_system_sgpr_workgroup_id_y 0
		.amdhsa_system_sgpr_workgroup_id_z 0
		.amdhsa_system_sgpr_workgroup_info 0
		.amdhsa_system_vgpr_workitem_id 0
		.amdhsa_next_free_vgpr 1
		.amdhsa_next_free_sgpr 0
		.amdhsa_reserve_vcc 0
		.amdhsa_reserve_flat_scratch 0
		.amdhsa_float_round_mode_32 0
		.amdhsa_float_round_mode_16_64 0
		.amdhsa_float_denorm_mode_32 3
		.amdhsa_float_denorm_mode_16_64 3
		.amdhsa_dx10_clamp 1
		.amdhsa_ieee_mode 1
		.amdhsa_fp16_overflow 0
		.amdhsa_exception_fp_ieee_invalid_op 0
		.amdhsa_exception_fp_denorm_src 0
		.amdhsa_exception_fp_ieee_div_zero 0
		.amdhsa_exception_fp_ieee_overflow 0
		.amdhsa_exception_fp_ieee_underflow 0
		.amdhsa_exception_fp_ieee_inexact 0
		.amdhsa_exception_int_div_zero 0
	.end_amdhsa_kernel
	.section	.text._ZN7rocprim17ROCPRIM_400000_NS6detail17trampoline_kernelINS0_14default_configENS1_22reduce_config_selectorIfEEZNS1_11reduce_implILb1ES3_N6thrust23THRUST_200600_302600_NS11hip_rocprim26transform_input_iterator_tIfNS8_17counting_iteratorIiNS8_11use_defaultESC_SC_EE11estimate_piEEPffNS8_4plusIfEEEE10hipError_tPvRmT1_T2_T3_mT4_P12ihipStream_tbEUlT_E1_NS1_11comp_targetILNS1_3genE10ELNS1_11target_archE1200ELNS1_3gpuE4ELNS1_3repE0EEENS1_30default_config_static_selectorELNS0_4arch9wavefront6targetE1EEEvSM_,"axG",@progbits,_ZN7rocprim17ROCPRIM_400000_NS6detail17trampoline_kernelINS0_14default_configENS1_22reduce_config_selectorIfEEZNS1_11reduce_implILb1ES3_N6thrust23THRUST_200600_302600_NS11hip_rocprim26transform_input_iterator_tIfNS8_17counting_iteratorIiNS8_11use_defaultESC_SC_EE11estimate_piEEPffNS8_4plusIfEEEE10hipError_tPvRmT1_T2_T3_mT4_P12ihipStream_tbEUlT_E1_NS1_11comp_targetILNS1_3genE10ELNS1_11target_archE1200ELNS1_3gpuE4ELNS1_3repE0EEENS1_30default_config_static_selectorELNS0_4arch9wavefront6targetE1EEEvSM_,comdat
.Lfunc_end34:
	.size	_ZN7rocprim17ROCPRIM_400000_NS6detail17trampoline_kernelINS0_14default_configENS1_22reduce_config_selectorIfEEZNS1_11reduce_implILb1ES3_N6thrust23THRUST_200600_302600_NS11hip_rocprim26transform_input_iterator_tIfNS8_17counting_iteratorIiNS8_11use_defaultESC_SC_EE11estimate_piEEPffNS8_4plusIfEEEE10hipError_tPvRmT1_T2_T3_mT4_P12ihipStream_tbEUlT_E1_NS1_11comp_targetILNS1_3genE10ELNS1_11target_archE1200ELNS1_3gpuE4ELNS1_3repE0EEENS1_30default_config_static_selectorELNS0_4arch9wavefront6targetE1EEEvSM_, .Lfunc_end34-_ZN7rocprim17ROCPRIM_400000_NS6detail17trampoline_kernelINS0_14default_configENS1_22reduce_config_selectorIfEEZNS1_11reduce_implILb1ES3_N6thrust23THRUST_200600_302600_NS11hip_rocprim26transform_input_iterator_tIfNS8_17counting_iteratorIiNS8_11use_defaultESC_SC_EE11estimate_piEEPffNS8_4plusIfEEEE10hipError_tPvRmT1_T2_T3_mT4_P12ihipStream_tbEUlT_E1_NS1_11comp_targetILNS1_3genE10ELNS1_11target_archE1200ELNS1_3gpuE4ELNS1_3repE0EEENS1_30default_config_static_selectorELNS0_4arch9wavefront6targetE1EEEvSM_
                                        ; -- End function
	.set _ZN7rocprim17ROCPRIM_400000_NS6detail17trampoline_kernelINS0_14default_configENS1_22reduce_config_selectorIfEEZNS1_11reduce_implILb1ES3_N6thrust23THRUST_200600_302600_NS11hip_rocprim26transform_input_iterator_tIfNS8_17counting_iteratorIiNS8_11use_defaultESC_SC_EE11estimate_piEEPffNS8_4plusIfEEEE10hipError_tPvRmT1_T2_T3_mT4_P12ihipStream_tbEUlT_E1_NS1_11comp_targetILNS1_3genE10ELNS1_11target_archE1200ELNS1_3gpuE4ELNS1_3repE0EEENS1_30default_config_static_selectorELNS0_4arch9wavefront6targetE1EEEvSM_.num_vgpr, 0
	.set _ZN7rocprim17ROCPRIM_400000_NS6detail17trampoline_kernelINS0_14default_configENS1_22reduce_config_selectorIfEEZNS1_11reduce_implILb1ES3_N6thrust23THRUST_200600_302600_NS11hip_rocprim26transform_input_iterator_tIfNS8_17counting_iteratorIiNS8_11use_defaultESC_SC_EE11estimate_piEEPffNS8_4plusIfEEEE10hipError_tPvRmT1_T2_T3_mT4_P12ihipStream_tbEUlT_E1_NS1_11comp_targetILNS1_3genE10ELNS1_11target_archE1200ELNS1_3gpuE4ELNS1_3repE0EEENS1_30default_config_static_selectorELNS0_4arch9wavefront6targetE1EEEvSM_.num_agpr, 0
	.set _ZN7rocprim17ROCPRIM_400000_NS6detail17trampoline_kernelINS0_14default_configENS1_22reduce_config_selectorIfEEZNS1_11reduce_implILb1ES3_N6thrust23THRUST_200600_302600_NS11hip_rocprim26transform_input_iterator_tIfNS8_17counting_iteratorIiNS8_11use_defaultESC_SC_EE11estimate_piEEPffNS8_4plusIfEEEE10hipError_tPvRmT1_T2_T3_mT4_P12ihipStream_tbEUlT_E1_NS1_11comp_targetILNS1_3genE10ELNS1_11target_archE1200ELNS1_3gpuE4ELNS1_3repE0EEENS1_30default_config_static_selectorELNS0_4arch9wavefront6targetE1EEEvSM_.numbered_sgpr, 0
	.set _ZN7rocprim17ROCPRIM_400000_NS6detail17trampoline_kernelINS0_14default_configENS1_22reduce_config_selectorIfEEZNS1_11reduce_implILb1ES3_N6thrust23THRUST_200600_302600_NS11hip_rocprim26transform_input_iterator_tIfNS8_17counting_iteratorIiNS8_11use_defaultESC_SC_EE11estimate_piEEPffNS8_4plusIfEEEE10hipError_tPvRmT1_T2_T3_mT4_P12ihipStream_tbEUlT_E1_NS1_11comp_targetILNS1_3genE10ELNS1_11target_archE1200ELNS1_3gpuE4ELNS1_3repE0EEENS1_30default_config_static_selectorELNS0_4arch9wavefront6targetE1EEEvSM_.num_named_barrier, 0
	.set _ZN7rocprim17ROCPRIM_400000_NS6detail17trampoline_kernelINS0_14default_configENS1_22reduce_config_selectorIfEEZNS1_11reduce_implILb1ES3_N6thrust23THRUST_200600_302600_NS11hip_rocprim26transform_input_iterator_tIfNS8_17counting_iteratorIiNS8_11use_defaultESC_SC_EE11estimate_piEEPffNS8_4plusIfEEEE10hipError_tPvRmT1_T2_T3_mT4_P12ihipStream_tbEUlT_E1_NS1_11comp_targetILNS1_3genE10ELNS1_11target_archE1200ELNS1_3gpuE4ELNS1_3repE0EEENS1_30default_config_static_selectorELNS0_4arch9wavefront6targetE1EEEvSM_.private_seg_size, 0
	.set _ZN7rocprim17ROCPRIM_400000_NS6detail17trampoline_kernelINS0_14default_configENS1_22reduce_config_selectorIfEEZNS1_11reduce_implILb1ES3_N6thrust23THRUST_200600_302600_NS11hip_rocprim26transform_input_iterator_tIfNS8_17counting_iteratorIiNS8_11use_defaultESC_SC_EE11estimate_piEEPffNS8_4plusIfEEEE10hipError_tPvRmT1_T2_T3_mT4_P12ihipStream_tbEUlT_E1_NS1_11comp_targetILNS1_3genE10ELNS1_11target_archE1200ELNS1_3gpuE4ELNS1_3repE0EEENS1_30default_config_static_selectorELNS0_4arch9wavefront6targetE1EEEvSM_.uses_vcc, 0
	.set _ZN7rocprim17ROCPRIM_400000_NS6detail17trampoline_kernelINS0_14default_configENS1_22reduce_config_selectorIfEEZNS1_11reduce_implILb1ES3_N6thrust23THRUST_200600_302600_NS11hip_rocprim26transform_input_iterator_tIfNS8_17counting_iteratorIiNS8_11use_defaultESC_SC_EE11estimate_piEEPffNS8_4plusIfEEEE10hipError_tPvRmT1_T2_T3_mT4_P12ihipStream_tbEUlT_E1_NS1_11comp_targetILNS1_3genE10ELNS1_11target_archE1200ELNS1_3gpuE4ELNS1_3repE0EEENS1_30default_config_static_selectorELNS0_4arch9wavefront6targetE1EEEvSM_.uses_flat_scratch, 0
	.set _ZN7rocprim17ROCPRIM_400000_NS6detail17trampoline_kernelINS0_14default_configENS1_22reduce_config_selectorIfEEZNS1_11reduce_implILb1ES3_N6thrust23THRUST_200600_302600_NS11hip_rocprim26transform_input_iterator_tIfNS8_17counting_iteratorIiNS8_11use_defaultESC_SC_EE11estimate_piEEPffNS8_4plusIfEEEE10hipError_tPvRmT1_T2_T3_mT4_P12ihipStream_tbEUlT_E1_NS1_11comp_targetILNS1_3genE10ELNS1_11target_archE1200ELNS1_3gpuE4ELNS1_3repE0EEENS1_30default_config_static_selectorELNS0_4arch9wavefront6targetE1EEEvSM_.has_dyn_sized_stack, 0
	.set _ZN7rocprim17ROCPRIM_400000_NS6detail17trampoline_kernelINS0_14default_configENS1_22reduce_config_selectorIfEEZNS1_11reduce_implILb1ES3_N6thrust23THRUST_200600_302600_NS11hip_rocprim26transform_input_iterator_tIfNS8_17counting_iteratorIiNS8_11use_defaultESC_SC_EE11estimate_piEEPffNS8_4plusIfEEEE10hipError_tPvRmT1_T2_T3_mT4_P12ihipStream_tbEUlT_E1_NS1_11comp_targetILNS1_3genE10ELNS1_11target_archE1200ELNS1_3gpuE4ELNS1_3repE0EEENS1_30default_config_static_selectorELNS0_4arch9wavefront6targetE1EEEvSM_.has_recursion, 0
	.set _ZN7rocprim17ROCPRIM_400000_NS6detail17trampoline_kernelINS0_14default_configENS1_22reduce_config_selectorIfEEZNS1_11reduce_implILb1ES3_N6thrust23THRUST_200600_302600_NS11hip_rocprim26transform_input_iterator_tIfNS8_17counting_iteratorIiNS8_11use_defaultESC_SC_EE11estimate_piEEPffNS8_4plusIfEEEE10hipError_tPvRmT1_T2_T3_mT4_P12ihipStream_tbEUlT_E1_NS1_11comp_targetILNS1_3genE10ELNS1_11target_archE1200ELNS1_3gpuE4ELNS1_3repE0EEENS1_30default_config_static_selectorELNS0_4arch9wavefront6targetE1EEEvSM_.has_indirect_call, 0
	.section	.AMDGPU.csdata,"",@progbits
; Kernel info:
; codeLenInByte = 0
; TotalNumSgprs: 4
; NumVgprs: 0
; ScratchSize: 0
; MemoryBound: 0
; FloatMode: 240
; IeeeMode: 1
; LDSByteSize: 0 bytes/workgroup (compile time only)
; SGPRBlocks: 0
; VGPRBlocks: 0
; NumSGPRsForWavesPerEU: 4
; NumVGPRsForWavesPerEU: 1
; Occupancy: 10
; WaveLimiterHint : 0
; COMPUTE_PGM_RSRC2:SCRATCH_EN: 0
; COMPUTE_PGM_RSRC2:USER_SGPR: 6
; COMPUTE_PGM_RSRC2:TRAP_HANDLER: 0
; COMPUTE_PGM_RSRC2:TGID_X_EN: 1
; COMPUTE_PGM_RSRC2:TGID_Y_EN: 0
; COMPUTE_PGM_RSRC2:TGID_Z_EN: 0
; COMPUTE_PGM_RSRC2:TIDIG_COMP_CNT: 0
	.section	.text._ZN7rocprim17ROCPRIM_400000_NS6detail17trampoline_kernelINS0_14default_configENS1_22reduce_config_selectorIfEEZNS1_11reduce_implILb1ES3_N6thrust23THRUST_200600_302600_NS11hip_rocprim26transform_input_iterator_tIfNS8_17counting_iteratorIiNS8_11use_defaultESC_SC_EE11estimate_piEEPffNS8_4plusIfEEEE10hipError_tPvRmT1_T2_T3_mT4_P12ihipStream_tbEUlT_E1_NS1_11comp_targetILNS1_3genE9ELNS1_11target_archE1100ELNS1_3gpuE3ELNS1_3repE0EEENS1_30default_config_static_selectorELNS0_4arch9wavefront6targetE1EEEvSM_,"axG",@progbits,_ZN7rocprim17ROCPRIM_400000_NS6detail17trampoline_kernelINS0_14default_configENS1_22reduce_config_selectorIfEEZNS1_11reduce_implILb1ES3_N6thrust23THRUST_200600_302600_NS11hip_rocprim26transform_input_iterator_tIfNS8_17counting_iteratorIiNS8_11use_defaultESC_SC_EE11estimate_piEEPffNS8_4plusIfEEEE10hipError_tPvRmT1_T2_T3_mT4_P12ihipStream_tbEUlT_E1_NS1_11comp_targetILNS1_3genE9ELNS1_11target_archE1100ELNS1_3gpuE3ELNS1_3repE0EEENS1_30default_config_static_selectorELNS0_4arch9wavefront6targetE1EEEvSM_,comdat
	.protected	_ZN7rocprim17ROCPRIM_400000_NS6detail17trampoline_kernelINS0_14default_configENS1_22reduce_config_selectorIfEEZNS1_11reduce_implILb1ES3_N6thrust23THRUST_200600_302600_NS11hip_rocprim26transform_input_iterator_tIfNS8_17counting_iteratorIiNS8_11use_defaultESC_SC_EE11estimate_piEEPffNS8_4plusIfEEEE10hipError_tPvRmT1_T2_T3_mT4_P12ihipStream_tbEUlT_E1_NS1_11comp_targetILNS1_3genE9ELNS1_11target_archE1100ELNS1_3gpuE3ELNS1_3repE0EEENS1_30default_config_static_selectorELNS0_4arch9wavefront6targetE1EEEvSM_ ; -- Begin function _ZN7rocprim17ROCPRIM_400000_NS6detail17trampoline_kernelINS0_14default_configENS1_22reduce_config_selectorIfEEZNS1_11reduce_implILb1ES3_N6thrust23THRUST_200600_302600_NS11hip_rocprim26transform_input_iterator_tIfNS8_17counting_iteratorIiNS8_11use_defaultESC_SC_EE11estimate_piEEPffNS8_4plusIfEEEE10hipError_tPvRmT1_T2_T3_mT4_P12ihipStream_tbEUlT_E1_NS1_11comp_targetILNS1_3genE9ELNS1_11target_archE1100ELNS1_3gpuE3ELNS1_3repE0EEENS1_30default_config_static_selectorELNS0_4arch9wavefront6targetE1EEEvSM_
	.globl	_ZN7rocprim17ROCPRIM_400000_NS6detail17trampoline_kernelINS0_14default_configENS1_22reduce_config_selectorIfEEZNS1_11reduce_implILb1ES3_N6thrust23THRUST_200600_302600_NS11hip_rocprim26transform_input_iterator_tIfNS8_17counting_iteratorIiNS8_11use_defaultESC_SC_EE11estimate_piEEPffNS8_4plusIfEEEE10hipError_tPvRmT1_T2_T3_mT4_P12ihipStream_tbEUlT_E1_NS1_11comp_targetILNS1_3genE9ELNS1_11target_archE1100ELNS1_3gpuE3ELNS1_3repE0EEENS1_30default_config_static_selectorELNS0_4arch9wavefront6targetE1EEEvSM_
	.p2align	8
	.type	_ZN7rocprim17ROCPRIM_400000_NS6detail17trampoline_kernelINS0_14default_configENS1_22reduce_config_selectorIfEEZNS1_11reduce_implILb1ES3_N6thrust23THRUST_200600_302600_NS11hip_rocprim26transform_input_iterator_tIfNS8_17counting_iteratorIiNS8_11use_defaultESC_SC_EE11estimate_piEEPffNS8_4plusIfEEEE10hipError_tPvRmT1_T2_T3_mT4_P12ihipStream_tbEUlT_E1_NS1_11comp_targetILNS1_3genE9ELNS1_11target_archE1100ELNS1_3gpuE3ELNS1_3repE0EEENS1_30default_config_static_selectorELNS0_4arch9wavefront6targetE1EEEvSM_,@function
_ZN7rocprim17ROCPRIM_400000_NS6detail17trampoline_kernelINS0_14default_configENS1_22reduce_config_selectorIfEEZNS1_11reduce_implILb1ES3_N6thrust23THRUST_200600_302600_NS11hip_rocprim26transform_input_iterator_tIfNS8_17counting_iteratorIiNS8_11use_defaultESC_SC_EE11estimate_piEEPffNS8_4plusIfEEEE10hipError_tPvRmT1_T2_T3_mT4_P12ihipStream_tbEUlT_E1_NS1_11comp_targetILNS1_3genE9ELNS1_11target_archE1100ELNS1_3gpuE3ELNS1_3repE0EEENS1_30default_config_static_selectorELNS0_4arch9wavefront6targetE1EEEvSM_: ; @_ZN7rocprim17ROCPRIM_400000_NS6detail17trampoline_kernelINS0_14default_configENS1_22reduce_config_selectorIfEEZNS1_11reduce_implILb1ES3_N6thrust23THRUST_200600_302600_NS11hip_rocprim26transform_input_iterator_tIfNS8_17counting_iteratorIiNS8_11use_defaultESC_SC_EE11estimate_piEEPffNS8_4plusIfEEEE10hipError_tPvRmT1_T2_T3_mT4_P12ihipStream_tbEUlT_E1_NS1_11comp_targetILNS1_3genE9ELNS1_11target_archE1100ELNS1_3gpuE3ELNS1_3repE0EEENS1_30default_config_static_selectorELNS0_4arch9wavefront6targetE1EEEvSM_
; %bb.0:
	.section	.rodata,"a",@progbits
	.p2align	6, 0x0
	.amdhsa_kernel _ZN7rocprim17ROCPRIM_400000_NS6detail17trampoline_kernelINS0_14default_configENS1_22reduce_config_selectorIfEEZNS1_11reduce_implILb1ES3_N6thrust23THRUST_200600_302600_NS11hip_rocprim26transform_input_iterator_tIfNS8_17counting_iteratorIiNS8_11use_defaultESC_SC_EE11estimate_piEEPffNS8_4plusIfEEEE10hipError_tPvRmT1_T2_T3_mT4_P12ihipStream_tbEUlT_E1_NS1_11comp_targetILNS1_3genE9ELNS1_11target_archE1100ELNS1_3gpuE3ELNS1_3repE0EEENS1_30default_config_static_selectorELNS0_4arch9wavefront6targetE1EEEvSM_
		.amdhsa_group_segment_fixed_size 0
		.amdhsa_private_segment_fixed_size 0
		.amdhsa_kernarg_size 40
		.amdhsa_user_sgpr_count 6
		.amdhsa_user_sgpr_private_segment_buffer 1
		.amdhsa_user_sgpr_dispatch_ptr 0
		.amdhsa_user_sgpr_queue_ptr 0
		.amdhsa_user_sgpr_kernarg_segment_ptr 1
		.amdhsa_user_sgpr_dispatch_id 0
		.amdhsa_user_sgpr_flat_scratch_init 0
		.amdhsa_user_sgpr_private_segment_size 0
		.amdhsa_uses_dynamic_stack 0
		.amdhsa_system_sgpr_private_segment_wavefront_offset 0
		.amdhsa_system_sgpr_workgroup_id_x 1
		.amdhsa_system_sgpr_workgroup_id_y 0
		.amdhsa_system_sgpr_workgroup_id_z 0
		.amdhsa_system_sgpr_workgroup_info 0
		.amdhsa_system_vgpr_workitem_id 0
		.amdhsa_next_free_vgpr 1
		.amdhsa_next_free_sgpr 0
		.amdhsa_reserve_vcc 0
		.amdhsa_reserve_flat_scratch 0
		.amdhsa_float_round_mode_32 0
		.amdhsa_float_round_mode_16_64 0
		.amdhsa_float_denorm_mode_32 3
		.amdhsa_float_denorm_mode_16_64 3
		.amdhsa_dx10_clamp 1
		.amdhsa_ieee_mode 1
		.amdhsa_fp16_overflow 0
		.amdhsa_exception_fp_ieee_invalid_op 0
		.amdhsa_exception_fp_denorm_src 0
		.amdhsa_exception_fp_ieee_div_zero 0
		.amdhsa_exception_fp_ieee_overflow 0
		.amdhsa_exception_fp_ieee_underflow 0
		.amdhsa_exception_fp_ieee_inexact 0
		.amdhsa_exception_int_div_zero 0
	.end_amdhsa_kernel
	.section	.text._ZN7rocprim17ROCPRIM_400000_NS6detail17trampoline_kernelINS0_14default_configENS1_22reduce_config_selectorIfEEZNS1_11reduce_implILb1ES3_N6thrust23THRUST_200600_302600_NS11hip_rocprim26transform_input_iterator_tIfNS8_17counting_iteratorIiNS8_11use_defaultESC_SC_EE11estimate_piEEPffNS8_4plusIfEEEE10hipError_tPvRmT1_T2_T3_mT4_P12ihipStream_tbEUlT_E1_NS1_11comp_targetILNS1_3genE9ELNS1_11target_archE1100ELNS1_3gpuE3ELNS1_3repE0EEENS1_30default_config_static_selectorELNS0_4arch9wavefront6targetE1EEEvSM_,"axG",@progbits,_ZN7rocprim17ROCPRIM_400000_NS6detail17trampoline_kernelINS0_14default_configENS1_22reduce_config_selectorIfEEZNS1_11reduce_implILb1ES3_N6thrust23THRUST_200600_302600_NS11hip_rocprim26transform_input_iterator_tIfNS8_17counting_iteratorIiNS8_11use_defaultESC_SC_EE11estimate_piEEPffNS8_4plusIfEEEE10hipError_tPvRmT1_T2_T3_mT4_P12ihipStream_tbEUlT_E1_NS1_11comp_targetILNS1_3genE9ELNS1_11target_archE1100ELNS1_3gpuE3ELNS1_3repE0EEENS1_30default_config_static_selectorELNS0_4arch9wavefront6targetE1EEEvSM_,comdat
.Lfunc_end35:
	.size	_ZN7rocprim17ROCPRIM_400000_NS6detail17trampoline_kernelINS0_14default_configENS1_22reduce_config_selectorIfEEZNS1_11reduce_implILb1ES3_N6thrust23THRUST_200600_302600_NS11hip_rocprim26transform_input_iterator_tIfNS8_17counting_iteratorIiNS8_11use_defaultESC_SC_EE11estimate_piEEPffNS8_4plusIfEEEE10hipError_tPvRmT1_T2_T3_mT4_P12ihipStream_tbEUlT_E1_NS1_11comp_targetILNS1_3genE9ELNS1_11target_archE1100ELNS1_3gpuE3ELNS1_3repE0EEENS1_30default_config_static_selectorELNS0_4arch9wavefront6targetE1EEEvSM_, .Lfunc_end35-_ZN7rocprim17ROCPRIM_400000_NS6detail17trampoline_kernelINS0_14default_configENS1_22reduce_config_selectorIfEEZNS1_11reduce_implILb1ES3_N6thrust23THRUST_200600_302600_NS11hip_rocprim26transform_input_iterator_tIfNS8_17counting_iteratorIiNS8_11use_defaultESC_SC_EE11estimate_piEEPffNS8_4plusIfEEEE10hipError_tPvRmT1_T2_T3_mT4_P12ihipStream_tbEUlT_E1_NS1_11comp_targetILNS1_3genE9ELNS1_11target_archE1100ELNS1_3gpuE3ELNS1_3repE0EEENS1_30default_config_static_selectorELNS0_4arch9wavefront6targetE1EEEvSM_
                                        ; -- End function
	.set _ZN7rocprim17ROCPRIM_400000_NS6detail17trampoline_kernelINS0_14default_configENS1_22reduce_config_selectorIfEEZNS1_11reduce_implILb1ES3_N6thrust23THRUST_200600_302600_NS11hip_rocprim26transform_input_iterator_tIfNS8_17counting_iteratorIiNS8_11use_defaultESC_SC_EE11estimate_piEEPffNS8_4plusIfEEEE10hipError_tPvRmT1_T2_T3_mT4_P12ihipStream_tbEUlT_E1_NS1_11comp_targetILNS1_3genE9ELNS1_11target_archE1100ELNS1_3gpuE3ELNS1_3repE0EEENS1_30default_config_static_selectorELNS0_4arch9wavefront6targetE1EEEvSM_.num_vgpr, 0
	.set _ZN7rocprim17ROCPRIM_400000_NS6detail17trampoline_kernelINS0_14default_configENS1_22reduce_config_selectorIfEEZNS1_11reduce_implILb1ES3_N6thrust23THRUST_200600_302600_NS11hip_rocprim26transform_input_iterator_tIfNS8_17counting_iteratorIiNS8_11use_defaultESC_SC_EE11estimate_piEEPffNS8_4plusIfEEEE10hipError_tPvRmT1_T2_T3_mT4_P12ihipStream_tbEUlT_E1_NS1_11comp_targetILNS1_3genE9ELNS1_11target_archE1100ELNS1_3gpuE3ELNS1_3repE0EEENS1_30default_config_static_selectorELNS0_4arch9wavefront6targetE1EEEvSM_.num_agpr, 0
	.set _ZN7rocprim17ROCPRIM_400000_NS6detail17trampoline_kernelINS0_14default_configENS1_22reduce_config_selectorIfEEZNS1_11reduce_implILb1ES3_N6thrust23THRUST_200600_302600_NS11hip_rocprim26transform_input_iterator_tIfNS8_17counting_iteratorIiNS8_11use_defaultESC_SC_EE11estimate_piEEPffNS8_4plusIfEEEE10hipError_tPvRmT1_T2_T3_mT4_P12ihipStream_tbEUlT_E1_NS1_11comp_targetILNS1_3genE9ELNS1_11target_archE1100ELNS1_3gpuE3ELNS1_3repE0EEENS1_30default_config_static_selectorELNS0_4arch9wavefront6targetE1EEEvSM_.numbered_sgpr, 0
	.set _ZN7rocprim17ROCPRIM_400000_NS6detail17trampoline_kernelINS0_14default_configENS1_22reduce_config_selectorIfEEZNS1_11reduce_implILb1ES3_N6thrust23THRUST_200600_302600_NS11hip_rocprim26transform_input_iterator_tIfNS8_17counting_iteratorIiNS8_11use_defaultESC_SC_EE11estimate_piEEPffNS8_4plusIfEEEE10hipError_tPvRmT1_T2_T3_mT4_P12ihipStream_tbEUlT_E1_NS1_11comp_targetILNS1_3genE9ELNS1_11target_archE1100ELNS1_3gpuE3ELNS1_3repE0EEENS1_30default_config_static_selectorELNS0_4arch9wavefront6targetE1EEEvSM_.num_named_barrier, 0
	.set _ZN7rocprim17ROCPRIM_400000_NS6detail17trampoline_kernelINS0_14default_configENS1_22reduce_config_selectorIfEEZNS1_11reduce_implILb1ES3_N6thrust23THRUST_200600_302600_NS11hip_rocprim26transform_input_iterator_tIfNS8_17counting_iteratorIiNS8_11use_defaultESC_SC_EE11estimate_piEEPffNS8_4plusIfEEEE10hipError_tPvRmT1_T2_T3_mT4_P12ihipStream_tbEUlT_E1_NS1_11comp_targetILNS1_3genE9ELNS1_11target_archE1100ELNS1_3gpuE3ELNS1_3repE0EEENS1_30default_config_static_selectorELNS0_4arch9wavefront6targetE1EEEvSM_.private_seg_size, 0
	.set _ZN7rocprim17ROCPRIM_400000_NS6detail17trampoline_kernelINS0_14default_configENS1_22reduce_config_selectorIfEEZNS1_11reduce_implILb1ES3_N6thrust23THRUST_200600_302600_NS11hip_rocprim26transform_input_iterator_tIfNS8_17counting_iteratorIiNS8_11use_defaultESC_SC_EE11estimate_piEEPffNS8_4plusIfEEEE10hipError_tPvRmT1_T2_T3_mT4_P12ihipStream_tbEUlT_E1_NS1_11comp_targetILNS1_3genE9ELNS1_11target_archE1100ELNS1_3gpuE3ELNS1_3repE0EEENS1_30default_config_static_selectorELNS0_4arch9wavefront6targetE1EEEvSM_.uses_vcc, 0
	.set _ZN7rocprim17ROCPRIM_400000_NS6detail17trampoline_kernelINS0_14default_configENS1_22reduce_config_selectorIfEEZNS1_11reduce_implILb1ES3_N6thrust23THRUST_200600_302600_NS11hip_rocprim26transform_input_iterator_tIfNS8_17counting_iteratorIiNS8_11use_defaultESC_SC_EE11estimate_piEEPffNS8_4plusIfEEEE10hipError_tPvRmT1_T2_T3_mT4_P12ihipStream_tbEUlT_E1_NS1_11comp_targetILNS1_3genE9ELNS1_11target_archE1100ELNS1_3gpuE3ELNS1_3repE0EEENS1_30default_config_static_selectorELNS0_4arch9wavefront6targetE1EEEvSM_.uses_flat_scratch, 0
	.set _ZN7rocprim17ROCPRIM_400000_NS6detail17trampoline_kernelINS0_14default_configENS1_22reduce_config_selectorIfEEZNS1_11reduce_implILb1ES3_N6thrust23THRUST_200600_302600_NS11hip_rocprim26transform_input_iterator_tIfNS8_17counting_iteratorIiNS8_11use_defaultESC_SC_EE11estimate_piEEPffNS8_4plusIfEEEE10hipError_tPvRmT1_T2_T3_mT4_P12ihipStream_tbEUlT_E1_NS1_11comp_targetILNS1_3genE9ELNS1_11target_archE1100ELNS1_3gpuE3ELNS1_3repE0EEENS1_30default_config_static_selectorELNS0_4arch9wavefront6targetE1EEEvSM_.has_dyn_sized_stack, 0
	.set _ZN7rocprim17ROCPRIM_400000_NS6detail17trampoline_kernelINS0_14default_configENS1_22reduce_config_selectorIfEEZNS1_11reduce_implILb1ES3_N6thrust23THRUST_200600_302600_NS11hip_rocprim26transform_input_iterator_tIfNS8_17counting_iteratorIiNS8_11use_defaultESC_SC_EE11estimate_piEEPffNS8_4plusIfEEEE10hipError_tPvRmT1_T2_T3_mT4_P12ihipStream_tbEUlT_E1_NS1_11comp_targetILNS1_3genE9ELNS1_11target_archE1100ELNS1_3gpuE3ELNS1_3repE0EEENS1_30default_config_static_selectorELNS0_4arch9wavefront6targetE1EEEvSM_.has_recursion, 0
	.set _ZN7rocprim17ROCPRIM_400000_NS6detail17trampoline_kernelINS0_14default_configENS1_22reduce_config_selectorIfEEZNS1_11reduce_implILb1ES3_N6thrust23THRUST_200600_302600_NS11hip_rocprim26transform_input_iterator_tIfNS8_17counting_iteratorIiNS8_11use_defaultESC_SC_EE11estimate_piEEPffNS8_4plusIfEEEE10hipError_tPvRmT1_T2_T3_mT4_P12ihipStream_tbEUlT_E1_NS1_11comp_targetILNS1_3genE9ELNS1_11target_archE1100ELNS1_3gpuE3ELNS1_3repE0EEENS1_30default_config_static_selectorELNS0_4arch9wavefront6targetE1EEEvSM_.has_indirect_call, 0
	.section	.AMDGPU.csdata,"",@progbits
; Kernel info:
; codeLenInByte = 0
; TotalNumSgprs: 4
; NumVgprs: 0
; ScratchSize: 0
; MemoryBound: 0
; FloatMode: 240
; IeeeMode: 1
; LDSByteSize: 0 bytes/workgroup (compile time only)
; SGPRBlocks: 0
; VGPRBlocks: 0
; NumSGPRsForWavesPerEU: 4
; NumVGPRsForWavesPerEU: 1
; Occupancy: 10
; WaveLimiterHint : 0
; COMPUTE_PGM_RSRC2:SCRATCH_EN: 0
; COMPUTE_PGM_RSRC2:USER_SGPR: 6
; COMPUTE_PGM_RSRC2:TRAP_HANDLER: 0
; COMPUTE_PGM_RSRC2:TGID_X_EN: 1
; COMPUTE_PGM_RSRC2:TGID_Y_EN: 0
; COMPUTE_PGM_RSRC2:TGID_Z_EN: 0
; COMPUTE_PGM_RSRC2:TIDIG_COMP_CNT: 0
	.section	.text._ZN7rocprim17ROCPRIM_400000_NS6detail17trampoline_kernelINS0_14default_configENS1_22reduce_config_selectorIfEEZNS1_11reduce_implILb1ES3_N6thrust23THRUST_200600_302600_NS11hip_rocprim26transform_input_iterator_tIfNS8_17counting_iteratorIiNS8_11use_defaultESC_SC_EE11estimate_piEEPffNS8_4plusIfEEEE10hipError_tPvRmT1_T2_T3_mT4_P12ihipStream_tbEUlT_E1_NS1_11comp_targetILNS1_3genE8ELNS1_11target_archE1030ELNS1_3gpuE2ELNS1_3repE0EEENS1_30default_config_static_selectorELNS0_4arch9wavefront6targetE1EEEvSM_,"axG",@progbits,_ZN7rocprim17ROCPRIM_400000_NS6detail17trampoline_kernelINS0_14default_configENS1_22reduce_config_selectorIfEEZNS1_11reduce_implILb1ES3_N6thrust23THRUST_200600_302600_NS11hip_rocprim26transform_input_iterator_tIfNS8_17counting_iteratorIiNS8_11use_defaultESC_SC_EE11estimate_piEEPffNS8_4plusIfEEEE10hipError_tPvRmT1_T2_T3_mT4_P12ihipStream_tbEUlT_E1_NS1_11comp_targetILNS1_3genE8ELNS1_11target_archE1030ELNS1_3gpuE2ELNS1_3repE0EEENS1_30default_config_static_selectorELNS0_4arch9wavefront6targetE1EEEvSM_,comdat
	.protected	_ZN7rocprim17ROCPRIM_400000_NS6detail17trampoline_kernelINS0_14default_configENS1_22reduce_config_selectorIfEEZNS1_11reduce_implILb1ES3_N6thrust23THRUST_200600_302600_NS11hip_rocprim26transform_input_iterator_tIfNS8_17counting_iteratorIiNS8_11use_defaultESC_SC_EE11estimate_piEEPffNS8_4plusIfEEEE10hipError_tPvRmT1_T2_T3_mT4_P12ihipStream_tbEUlT_E1_NS1_11comp_targetILNS1_3genE8ELNS1_11target_archE1030ELNS1_3gpuE2ELNS1_3repE0EEENS1_30default_config_static_selectorELNS0_4arch9wavefront6targetE1EEEvSM_ ; -- Begin function _ZN7rocprim17ROCPRIM_400000_NS6detail17trampoline_kernelINS0_14default_configENS1_22reduce_config_selectorIfEEZNS1_11reduce_implILb1ES3_N6thrust23THRUST_200600_302600_NS11hip_rocprim26transform_input_iterator_tIfNS8_17counting_iteratorIiNS8_11use_defaultESC_SC_EE11estimate_piEEPffNS8_4plusIfEEEE10hipError_tPvRmT1_T2_T3_mT4_P12ihipStream_tbEUlT_E1_NS1_11comp_targetILNS1_3genE8ELNS1_11target_archE1030ELNS1_3gpuE2ELNS1_3repE0EEENS1_30default_config_static_selectorELNS0_4arch9wavefront6targetE1EEEvSM_
	.globl	_ZN7rocprim17ROCPRIM_400000_NS6detail17trampoline_kernelINS0_14default_configENS1_22reduce_config_selectorIfEEZNS1_11reduce_implILb1ES3_N6thrust23THRUST_200600_302600_NS11hip_rocprim26transform_input_iterator_tIfNS8_17counting_iteratorIiNS8_11use_defaultESC_SC_EE11estimate_piEEPffNS8_4plusIfEEEE10hipError_tPvRmT1_T2_T3_mT4_P12ihipStream_tbEUlT_E1_NS1_11comp_targetILNS1_3genE8ELNS1_11target_archE1030ELNS1_3gpuE2ELNS1_3repE0EEENS1_30default_config_static_selectorELNS0_4arch9wavefront6targetE1EEEvSM_
	.p2align	8
	.type	_ZN7rocprim17ROCPRIM_400000_NS6detail17trampoline_kernelINS0_14default_configENS1_22reduce_config_selectorIfEEZNS1_11reduce_implILb1ES3_N6thrust23THRUST_200600_302600_NS11hip_rocprim26transform_input_iterator_tIfNS8_17counting_iteratorIiNS8_11use_defaultESC_SC_EE11estimate_piEEPffNS8_4plusIfEEEE10hipError_tPvRmT1_T2_T3_mT4_P12ihipStream_tbEUlT_E1_NS1_11comp_targetILNS1_3genE8ELNS1_11target_archE1030ELNS1_3gpuE2ELNS1_3repE0EEENS1_30default_config_static_selectorELNS0_4arch9wavefront6targetE1EEEvSM_,@function
_ZN7rocprim17ROCPRIM_400000_NS6detail17trampoline_kernelINS0_14default_configENS1_22reduce_config_selectorIfEEZNS1_11reduce_implILb1ES3_N6thrust23THRUST_200600_302600_NS11hip_rocprim26transform_input_iterator_tIfNS8_17counting_iteratorIiNS8_11use_defaultESC_SC_EE11estimate_piEEPffNS8_4plusIfEEEE10hipError_tPvRmT1_T2_T3_mT4_P12ihipStream_tbEUlT_E1_NS1_11comp_targetILNS1_3genE8ELNS1_11target_archE1030ELNS1_3gpuE2ELNS1_3repE0EEENS1_30default_config_static_selectorELNS0_4arch9wavefront6targetE1EEEvSM_: ; @_ZN7rocprim17ROCPRIM_400000_NS6detail17trampoline_kernelINS0_14default_configENS1_22reduce_config_selectorIfEEZNS1_11reduce_implILb1ES3_N6thrust23THRUST_200600_302600_NS11hip_rocprim26transform_input_iterator_tIfNS8_17counting_iteratorIiNS8_11use_defaultESC_SC_EE11estimate_piEEPffNS8_4plusIfEEEE10hipError_tPvRmT1_T2_T3_mT4_P12ihipStream_tbEUlT_E1_NS1_11comp_targetILNS1_3genE8ELNS1_11target_archE1030ELNS1_3gpuE2ELNS1_3repE0EEENS1_30default_config_static_selectorELNS0_4arch9wavefront6targetE1EEEvSM_
; %bb.0:
	.section	.rodata,"a",@progbits
	.p2align	6, 0x0
	.amdhsa_kernel _ZN7rocprim17ROCPRIM_400000_NS6detail17trampoline_kernelINS0_14default_configENS1_22reduce_config_selectorIfEEZNS1_11reduce_implILb1ES3_N6thrust23THRUST_200600_302600_NS11hip_rocprim26transform_input_iterator_tIfNS8_17counting_iteratorIiNS8_11use_defaultESC_SC_EE11estimate_piEEPffNS8_4plusIfEEEE10hipError_tPvRmT1_T2_T3_mT4_P12ihipStream_tbEUlT_E1_NS1_11comp_targetILNS1_3genE8ELNS1_11target_archE1030ELNS1_3gpuE2ELNS1_3repE0EEENS1_30default_config_static_selectorELNS0_4arch9wavefront6targetE1EEEvSM_
		.amdhsa_group_segment_fixed_size 0
		.amdhsa_private_segment_fixed_size 0
		.amdhsa_kernarg_size 40
		.amdhsa_user_sgpr_count 6
		.amdhsa_user_sgpr_private_segment_buffer 1
		.amdhsa_user_sgpr_dispatch_ptr 0
		.amdhsa_user_sgpr_queue_ptr 0
		.amdhsa_user_sgpr_kernarg_segment_ptr 1
		.amdhsa_user_sgpr_dispatch_id 0
		.amdhsa_user_sgpr_flat_scratch_init 0
		.amdhsa_user_sgpr_private_segment_size 0
		.amdhsa_uses_dynamic_stack 0
		.amdhsa_system_sgpr_private_segment_wavefront_offset 0
		.amdhsa_system_sgpr_workgroup_id_x 1
		.amdhsa_system_sgpr_workgroup_id_y 0
		.amdhsa_system_sgpr_workgroup_id_z 0
		.amdhsa_system_sgpr_workgroup_info 0
		.amdhsa_system_vgpr_workitem_id 0
		.amdhsa_next_free_vgpr 1
		.amdhsa_next_free_sgpr 0
		.amdhsa_reserve_vcc 0
		.amdhsa_reserve_flat_scratch 0
		.amdhsa_float_round_mode_32 0
		.amdhsa_float_round_mode_16_64 0
		.amdhsa_float_denorm_mode_32 3
		.amdhsa_float_denorm_mode_16_64 3
		.amdhsa_dx10_clamp 1
		.amdhsa_ieee_mode 1
		.amdhsa_fp16_overflow 0
		.amdhsa_exception_fp_ieee_invalid_op 0
		.amdhsa_exception_fp_denorm_src 0
		.amdhsa_exception_fp_ieee_div_zero 0
		.amdhsa_exception_fp_ieee_overflow 0
		.amdhsa_exception_fp_ieee_underflow 0
		.amdhsa_exception_fp_ieee_inexact 0
		.amdhsa_exception_int_div_zero 0
	.end_amdhsa_kernel
	.section	.text._ZN7rocprim17ROCPRIM_400000_NS6detail17trampoline_kernelINS0_14default_configENS1_22reduce_config_selectorIfEEZNS1_11reduce_implILb1ES3_N6thrust23THRUST_200600_302600_NS11hip_rocprim26transform_input_iterator_tIfNS8_17counting_iteratorIiNS8_11use_defaultESC_SC_EE11estimate_piEEPffNS8_4plusIfEEEE10hipError_tPvRmT1_T2_T3_mT4_P12ihipStream_tbEUlT_E1_NS1_11comp_targetILNS1_3genE8ELNS1_11target_archE1030ELNS1_3gpuE2ELNS1_3repE0EEENS1_30default_config_static_selectorELNS0_4arch9wavefront6targetE1EEEvSM_,"axG",@progbits,_ZN7rocprim17ROCPRIM_400000_NS6detail17trampoline_kernelINS0_14default_configENS1_22reduce_config_selectorIfEEZNS1_11reduce_implILb1ES3_N6thrust23THRUST_200600_302600_NS11hip_rocprim26transform_input_iterator_tIfNS8_17counting_iteratorIiNS8_11use_defaultESC_SC_EE11estimate_piEEPffNS8_4plusIfEEEE10hipError_tPvRmT1_T2_T3_mT4_P12ihipStream_tbEUlT_E1_NS1_11comp_targetILNS1_3genE8ELNS1_11target_archE1030ELNS1_3gpuE2ELNS1_3repE0EEENS1_30default_config_static_selectorELNS0_4arch9wavefront6targetE1EEEvSM_,comdat
.Lfunc_end36:
	.size	_ZN7rocprim17ROCPRIM_400000_NS6detail17trampoline_kernelINS0_14default_configENS1_22reduce_config_selectorIfEEZNS1_11reduce_implILb1ES3_N6thrust23THRUST_200600_302600_NS11hip_rocprim26transform_input_iterator_tIfNS8_17counting_iteratorIiNS8_11use_defaultESC_SC_EE11estimate_piEEPffNS8_4plusIfEEEE10hipError_tPvRmT1_T2_T3_mT4_P12ihipStream_tbEUlT_E1_NS1_11comp_targetILNS1_3genE8ELNS1_11target_archE1030ELNS1_3gpuE2ELNS1_3repE0EEENS1_30default_config_static_selectorELNS0_4arch9wavefront6targetE1EEEvSM_, .Lfunc_end36-_ZN7rocprim17ROCPRIM_400000_NS6detail17trampoline_kernelINS0_14default_configENS1_22reduce_config_selectorIfEEZNS1_11reduce_implILb1ES3_N6thrust23THRUST_200600_302600_NS11hip_rocprim26transform_input_iterator_tIfNS8_17counting_iteratorIiNS8_11use_defaultESC_SC_EE11estimate_piEEPffNS8_4plusIfEEEE10hipError_tPvRmT1_T2_T3_mT4_P12ihipStream_tbEUlT_E1_NS1_11comp_targetILNS1_3genE8ELNS1_11target_archE1030ELNS1_3gpuE2ELNS1_3repE0EEENS1_30default_config_static_selectorELNS0_4arch9wavefront6targetE1EEEvSM_
                                        ; -- End function
	.set _ZN7rocprim17ROCPRIM_400000_NS6detail17trampoline_kernelINS0_14default_configENS1_22reduce_config_selectorIfEEZNS1_11reduce_implILb1ES3_N6thrust23THRUST_200600_302600_NS11hip_rocprim26transform_input_iterator_tIfNS8_17counting_iteratorIiNS8_11use_defaultESC_SC_EE11estimate_piEEPffNS8_4plusIfEEEE10hipError_tPvRmT1_T2_T3_mT4_P12ihipStream_tbEUlT_E1_NS1_11comp_targetILNS1_3genE8ELNS1_11target_archE1030ELNS1_3gpuE2ELNS1_3repE0EEENS1_30default_config_static_selectorELNS0_4arch9wavefront6targetE1EEEvSM_.num_vgpr, 0
	.set _ZN7rocprim17ROCPRIM_400000_NS6detail17trampoline_kernelINS0_14default_configENS1_22reduce_config_selectorIfEEZNS1_11reduce_implILb1ES3_N6thrust23THRUST_200600_302600_NS11hip_rocprim26transform_input_iterator_tIfNS8_17counting_iteratorIiNS8_11use_defaultESC_SC_EE11estimate_piEEPffNS8_4plusIfEEEE10hipError_tPvRmT1_T2_T3_mT4_P12ihipStream_tbEUlT_E1_NS1_11comp_targetILNS1_3genE8ELNS1_11target_archE1030ELNS1_3gpuE2ELNS1_3repE0EEENS1_30default_config_static_selectorELNS0_4arch9wavefront6targetE1EEEvSM_.num_agpr, 0
	.set _ZN7rocprim17ROCPRIM_400000_NS6detail17trampoline_kernelINS0_14default_configENS1_22reduce_config_selectorIfEEZNS1_11reduce_implILb1ES3_N6thrust23THRUST_200600_302600_NS11hip_rocprim26transform_input_iterator_tIfNS8_17counting_iteratorIiNS8_11use_defaultESC_SC_EE11estimate_piEEPffNS8_4plusIfEEEE10hipError_tPvRmT1_T2_T3_mT4_P12ihipStream_tbEUlT_E1_NS1_11comp_targetILNS1_3genE8ELNS1_11target_archE1030ELNS1_3gpuE2ELNS1_3repE0EEENS1_30default_config_static_selectorELNS0_4arch9wavefront6targetE1EEEvSM_.numbered_sgpr, 0
	.set _ZN7rocprim17ROCPRIM_400000_NS6detail17trampoline_kernelINS0_14default_configENS1_22reduce_config_selectorIfEEZNS1_11reduce_implILb1ES3_N6thrust23THRUST_200600_302600_NS11hip_rocprim26transform_input_iterator_tIfNS8_17counting_iteratorIiNS8_11use_defaultESC_SC_EE11estimate_piEEPffNS8_4plusIfEEEE10hipError_tPvRmT1_T2_T3_mT4_P12ihipStream_tbEUlT_E1_NS1_11comp_targetILNS1_3genE8ELNS1_11target_archE1030ELNS1_3gpuE2ELNS1_3repE0EEENS1_30default_config_static_selectorELNS0_4arch9wavefront6targetE1EEEvSM_.num_named_barrier, 0
	.set _ZN7rocprim17ROCPRIM_400000_NS6detail17trampoline_kernelINS0_14default_configENS1_22reduce_config_selectorIfEEZNS1_11reduce_implILb1ES3_N6thrust23THRUST_200600_302600_NS11hip_rocprim26transform_input_iterator_tIfNS8_17counting_iteratorIiNS8_11use_defaultESC_SC_EE11estimate_piEEPffNS8_4plusIfEEEE10hipError_tPvRmT1_T2_T3_mT4_P12ihipStream_tbEUlT_E1_NS1_11comp_targetILNS1_3genE8ELNS1_11target_archE1030ELNS1_3gpuE2ELNS1_3repE0EEENS1_30default_config_static_selectorELNS0_4arch9wavefront6targetE1EEEvSM_.private_seg_size, 0
	.set _ZN7rocprim17ROCPRIM_400000_NS6detail17trampoline_kernelINS0_14default_configENS1_22reduce_config_selectorIfEEZNS1_11reduce_implILb1ES3_N6thrust23THRUST_200600_302600_NS11hip_rocprim26transform_input_iterator_tIfNS8_17counting_iteratorIiNS8_11use_defaultESC_SC_EE11estimate_piEEPffNS8_4plusIfEEEE10hipError_tPvRmT1_T2_T3_mT4_P12ihipStream_tbEUlT_E1_NS1_11comp_targetILNS1_3genE8ELNS1_11target_archE1030ELNS1_3gpuE2ELNS1_3repE0EEENS1_30default_config_static_selectorELNS0_4arch9wavefront6targetE1EEEvSM_.uses_vcc, 0
	.set _ZN7rocprim17ROCPRIM_400000_NS6detail17trampoline_kernelINS0_14default_configENS1_22reduce_config_selectorIfEEZNS1_11reduce_implILb1ES3_N6thrust23THRUST_200600_302600_NS11hip_rocprim26transform_input_iterator_tIfNS8_17counting_iteratorIiNS8_11use_defaultESC_SC_EE11estimate_piEEPffNS8_4plusIfEEEE10hipError_tPvRmT1_T2_T3_mT4_P12ihipStream_tbEUlT_E1_NS1_11comp_targetILNS1_3genE8ELNS1_11target_archE1030ELNS1_3gpuE2ELNS1_3repE0EEENS1_30default_config_static_selectorELNS0_4arch9wavefront6targetE1EEEvSM_.uses_flat_scratch, 0
	.set _ZN7rocprim17ROCPRIM_400000_NS6detail17trampoline_kernelINS0_14default_configENS1_22reduce_config_selectorIfEEZNS1_11reduce_implILb1ES3_N6thrust23THRUST_200600_302600_NS11hip_rocprim26transform_input_iterator_tIfNS8_17counting_iteratorIiNS8_11use_defaultESC_SC_EE11estimate_piEEPffNS8_4plusIfEEEE10hipError_tPvRmT1_T2_T3_mT4_P12ihipStream_tbEUlT_E1_NS1_11comp_targetILNS1_3genE8ELNS1_11target_archE1030ELNS1_3gpuE2ELNS1_3repE0EEENS1_30default_config_static_selectorELNS0_4arch9wavefront6targetE1EEEvSM_.has_dyn_sized_stack, 0
	.set _ZN7rocprim17ROCPRIM_400000_NS6detail17trampoline_kernelINS0_14default_configENS1_22reduce_config_selectorIfEEZNS1_11reduce_implILb1ES3_N6thrust23THRUST_200600_302600_NS11hip_rocprim26transform_input_iterator_tIfNS8_17counting_iteratorIiNS8_11use_defaultESC_SC_EE11estimate_piEEPffNS8_4plusIfEEEE10hipError_tPvRmT1_T2_T3_mT4_P12ihipStream_tbEUlT_E1_NS1_11comp_targetILNS1_3genE8ELNS1_11target_archE1030ELNS1_3gpuE2ELNS1_3repE0EEENS1_30default_config_static_selectorELNS0_4arch9wavefront6targetE1EEEvSM_.has_recursion, 0
	.set _ZN7rocprim17ROCPRIM_400000_NS6detail17trampoline_kernelINS0_14default_configENS1_22reduce_config_selectorIfEEZNS1_11reduce_implILb1ES3_N6thrust23THRUST_200600_302600_NS11hip_rocprim26transform_input_iterator_tIfNS8_17counting_iteratorIiNS8_11use_defaultESC_SC_EE11estimate_piEEPffNS8_4plusIfEEEE10hipError_tPvRmT1_T2_T3_mT4_P12ihipStream_tbEUlT_E1_NS1_11comp_targetILNS1_3genE8ELNS1_11target_archE1030ELNS1_3gpuE2ELNS1_3repE0EEENS1_30default_config_static_selectorELNS0_4arch9wavefront6targetE1EEEvSM_.has_indirect_call, 0
	.section	.AMDGPU.csdata,"",@progbits
; Kernel info:
; codeLenInByte = 0
; TotalNumSgprs: 4
; NumVgprs: 0
; ScratchSize: 0
; MemoryBound: 0
; FloatMode: 240
; IeeeMode: 1
; LDSByteSize: 0 bytes/workgroup (compile time only)
; SGPRBlocks: 0
; VGPRBlocks: 0
; NumSGPRsForWavesPerEU: 4
; NumVGPRsForWavesPerEU: 1
; Occupancy: 10
; WaveLimiterHint : 0
; COMPUTE_PGM_RSRC2:SCRATCH_EN: 0
; COMPUTE_PGM_RSRC2:USER_SGPR: 6
; COMPUTE_PGM_RSRC2:TRAP_HANDLER: 0
; COMPUTE_PGM_RSRC2:TGID_X_EN: 1
; COMPUTE_PGM_RSRC2:TGID_Y_EN: 0
; COMPUTE_PGM_RSRC2:TGID_Z_EN: 0
; COMPUTE_PGM_RSRC2:TIDIG_COMP_CNT: 0
	.section	.AMDGPU.gpr_maximums,"",@progbits
	.set amdgpu.max_num_vgpr, 84
	.set amdgpu.max_num_agpr, 0
	.set amdgpu.max_num_sgpr, 96
	.section	.AMDGPU.csdata,"",@progbits
	.type	__hip_cuid_64f817b00efaccd7,@object ; @__hip_cuid_64f817b00efaccd7
	.section	.bss,"aw",@nobits
	.globl	__hip_cuid_64f817b00efaccd7
__hip_cuid_64f817b00efaccd7:
	.byte	0                               ; 0x0
	.size	__hip_cuid_64f817b00efaccd7, 1

	.ident	"AMD clang version 22.0.0git (https://github.com/RadeonOpenCompute/llvm-project roc-7.2.4 26084 f58b06dce1f9c15707c5f808fd002e18c2accf7e)"
	.section	".note.GNU-stack","",@progbits
	.addrsig
	.addrsig_sym __hip_cuid_64f817b00efaccd7
	.amdgpu_metadata
---
amdhsa.kernels:
  - .args:
      - .offset:         0
        .size:           56
        .value_kind:     by_value
    .group_segment_fixed_size: 0
    .kernarg_segment_align: 8
    .kernarg_segment_size: 56
    .language:       OpenCL C
    .language_version:
      - 2
      - 0
    .max_flat_workgroup_size: 256
    .name:           _ZN7rocprim17ROCPRIM_400000_NS6detail17trampoline_kernelINS0_14default_configENS1_22reduce_config_selectorIfEEZNS1_11reduce_implILb1ES3_PfS7_fN6thrust23THRUST_200600_302600_NS4plusIfEEEE10hipError_tPvRmT1_T2_T3_mT4_P12ihipStream_tbEUlT_E0_NS1_11comp_targetILNS1_3genE0ELNS1_11target_archE4294967295ELNS1_3gpuE0ELNS1_3repE0EEENS1_30default_config_static_selectorELNS0_4arch9wavefront6targetE1EEEvSF_
    .private_segment_fixed_size: 0
    .sgpr_count:     4
    .sgpr_spill_count: 0
    .symbol:         _ZN7rocprim17ROCPRIM_400000_NS6detail17trampoline_kernelINS0_14default_configENS1_22reduce_config_selectorIfEEZNS1_11reduce_implILb1ES3_PfS7_fN6thrust23THRUST_200600_302600_NS4plusIfEEEE10hipError_tPvRmT1_T2_T3_mT4_P12ihipStream_tbEUlT_E0_NS1_11comp_targetILNS1_3genE0ELNS1_11target_archE4294967295ELNS1_3gpuE0ELNS1_3repE0EEENS1_30default_config_static_selectorELNS0_4arch9wavefront6targetE1EEEvSF_.kd
    .uniform_work_group_size: 1
    .uses_dynamic_stack: false
    .vgpr_count:     0
    .vgpr_spill_count: 0
    .wavefront_size: 64
  - .args:
      - .offset:         0
        .size:           56
        .value_kind:     by_value
    .group_segment_fixed_size: 0
    .kernarg_segment_align: 8
    .kernarg_segment_size: 56
    .language:       OpenCL C
    .language_version:
      - 2
      - 0
    .max_flat_workgroup_size: 128
    .name:           _ZN7rocprim17ROCPRIM_400000_NS6detail17trampoline_kernelINS0_14default_configENS1_22reduce_config_selectorIfEEZNS1_11reduce_implILb1ES3_PfS7_fN6thrust23THRUST_200600_302600_NS4plusIfEEEE10hipError_tPvRmT1_T2_T3_mT4_P12ihipStream_tbEUlT_E0_NS1_11comp_targetILNS1_3genE5ELNS1_11target_archE942ELNS1_3gpuE9ELNS1_3repE0EEENS1_30default_config_static_selectorELNS0_4arch9wavefront6targetE1EEEvSF_
    .private_segment_fixed_size: 0
    .sgpr_count:     4
    .sgpr_spill_count: 0
    .symbol:         _ZN7rocprim17ROCPRIM_400000_NS6detail17trampoline_kernelINS0_14default_configENS1_22reduce_config_selectorIfEEZNS1_11reduce_implILb1ES3_PfS7_fN6thrust23THRUST_200600_302600_NS4plusIfEEEE10hipError_tPvRmT1_T2_T3_mT4_P12ihipStream_tbEUlT_E0_NS1_11comp_targetILNS1_3genE5ELNS1_11target_archE942ELNS1_3gpuE9ELNS1_3repE0EEENS1_30default_config_static_selectorELNS0_4arch9wavefront6targetE1EEEvSF_.kd
    .uniform_work_group_size: 1
    .uses_dynamic_stack: false
    .vgpr_count:     0
    .vgpr_spill_count: 0
    .wavefront_size: 64
  - .args:
      - .offset:         0
        .size:           56
        .value_kind:     by_value
    .group_segment_fixed_size: 0
    .kernarg_segment_align: 8
    .kernarg_segment_size: 56
    .language:       OpenCL C
    .language_version:
      - 2
      - 0
    .max_flat_workgroup_size: 128
    .name:           _ZN7rocprim17ROCPRIM_400000_NS6detail17trampoline_kernelINS0_14default_configENS1_22reduce_config_selectorIfEEZNS1_11reduce_implILb1ES3_PfS7_fN6thrust23THRUST_200600_302600_NS4plusIfEEEE10hipError_tPvRmT1_T2_T3_mT4_P12ihipStream_tbEUlT_E0_NS1_11comp_targetILNS1_3genE4ELNS1_11target_archE910ELNS1_3gpuE8ELNS1_3repE0EEENS1_30default_config_static_selectorELNS0_4arch9wavefront6targetE1EEEvSF_
    .private_segment_fixed_size: 0
    .sgpr_count:     4
    .sgpr_spill_count: 0
    .symbol:         _ZN7rocprim17ROCPRIM_400000_NS6detail17trampoline_kernelINS0_14default_configENS1_22reduce_config_selectorIfEEZNS1_11reduce_implILb1ES3_PfS7_fN6thrust23THRUST_200600_302600_NS4plusIfEEEE10hipError_tPvRmT1_T2_T3_mT4_P12ihipStream_tbEUlT_E0_NS1_11comp_targetILNS1_3genE4ELNS1_11target_archE910ELNS1_3gpuE8ELNS1_3repE0EEENS1_30default_config_static_selectorELNS0_4arch9wavefront6targetE1EEEvSF_.kd
    .uniform_work_group_size: 1
    .uses_dynamic_stack: false
    .vgpr_count:     0
    .vgpr_spill_count: 0
    .wavefront_size: 64
  - .args:
      - .offset:         0
        .size:           56
        .value_kind:     by_value
    .group_segment_fixed_size: 0
    .kernarg_segment_align: 8
    .kernarg_segment_size: 56
    .language:       OpenCL C
    .language_version:
      - 2
      - 0
    .max_flat_workgroup_size: 256
    .name:           _ZN7rocprim17ROCPRIM_400000_NS6detail17trampoline_kernelINS0_14default_configENS1_22reduce_config_selectorIfEEZNS1_11reduce_implILb1ES3_PfS7_fN6thrust23THRUST_200600_302600_NS4plusIfEEEE10hipError_tPvRmT1_T2_T3_mT4_P12ihipStream_tbEUlT_E0_NS1_11comp_targetILNS1_3genE3ELNS1_11target_archE908ELNS1_3gpuE7ELNS1_3repE0EEENS1_30default_config_static_selectorELNS0_4arch9wavefront6targetE1EEEvSF_
    .private_segment_fixed_size: 0
    .sgpr_count:     4
    .sgpr_spill_count: 0
    .symbol:         _ZN7rocprim17ROCPRIM_400000_NS6detail17trampoline_kernelINS0_14default_configENS1_22reduce_config_selectorIfEEZNS1_11reduce_implILb1ES3_PfS7_fN6thrust23THRUST_200600_302600_NS4plusIfEEEE10hipError_tPvRmT1_T2_T3_mT4_P12ihipStream_tbEUlT_E0_NS1_11comp_targetILNS1_3genE3ELNS1_11target_archE908ELNS1_3gpuE7ELNS1_3repE0EEENS1_30default_config_static_selectorELNS0_4arch9wavefront6targetE1EEEvSF_.kd
    .uniform_work_group_size: 1
    .uses_dynamic_stack: false
    .vgpr_count:     0
    .vgpr_spill_count: 0
    .wavefront_size: 64
  - .args:
      - .offset:         0
        .size:           56
        .value_kind:     by_value
    .group_segment_fixed_size: 32
    .kernarg_segment_align: 8
    .kernarg_segment_size: 56
    .language:       OpenCL C
    .language_version:
      - 2
      - 0
    .max_flat_workgroup_size: 256
    .name:           _ZN7rocprim17ROCPRIM_400000_NS6detail17trampoline_kernelINS0_14default_configENS1_22reduce_config_selectorIfEEZNS1_11reduce_implILb1ES3_PfS7_fN6thrust23THRUST_200600_302600_NS4plusIfEEEE10hipError_tPvRmT1_T2_T3_mT4_P12ihipStream_tbEUlT_E0_NS1_11comp_targetILNS1_3genE2ELNS1_11target_archE906ELNS1_3gpuE6ELNS1_3repE0EEENS1_30default_config_static_selectorELNS0_4arch9wavefront6targetE1EEEvSF_
    .private_segment_fixed_size: 0
    .sgpr_count:     24
    .sgpr_spill_count: 0
    .symbol:         _ZN7rocprim17ROCPRIM_400000_NS6detail17trampoline_kernelINS0_14default_configENS1_22reduce_config_selectorIfEEZNS1_11reduce_implILb1ES3_PfS7_fN6thrust23THRUST_200600_302600_NS4plusIfEEEE10hipError_tPvRmT1_T2_T3_mT4_P12ihipStream_tbEUlT_E0_NS1_11comp_targetILNS1_3genE2ELNS1_11target_archE906ELNS1_3gpuE6ELNS1_3repE0EEENS1_30default_config_static_selectorELNS0_4arch9wavefront6targetE1EEEvSF_.kd
    .uniform_work_group_size: 1
    .uses_dynamic_stack: false
    .vgpr_count:     11
    .vgpr_spill_count: 0
    .wavefront_size: 64
  - .args:
      - .offset:         0
        .size:           56
        .value_kind:     by_value
    .group_segment_fixed_size: 0
    .kernarg_segment_align: 8
    .kernarg_segment_size: 56
    .language:       OpenCL C
    .language_version:
      - 2
      - 0
    .max_flat_workgroup_size: 256
    .name:           _ZN7rocprim17ROCPRIM_400000_NS6detail17trampoline_kernelINS0_14default_configENS1_22reduce_config_selectorIfEEZNS1_11reduce_implILb1ES3_PfS7_fN6thrust23THRUST_200600_302600_NS4plusIfEEEE10hipError_tPvRmT1_T2_T3_mT4_P12ihipStream_tbEUlT_E0_NS1_11comp_targetILNS1_3genE10ELNS1_11target_archE1201ELNS1_3gpuE5ELNS1_3repE0EEENS1_30default_config_static_selectorELNS0_4arch9wavefront6targetE1EEEvSF_
    .private_segment_fixed_size: 0
    .sgpr_count:     4
    .sgpr_spill_count: 0
    .symbol:         _ZN7rocprim17ROCPRIM_400000_NS6detail17trampoline_kernelINS0_14default_configENS1_22reduce_config_selectorIfEEZNS1_11reduce_implILb1ES3_PfS7_fN6thrust23THRUST_200600_302600_NS4plusIfEEEE10hipError_tPvRmT1_T2_T3_mT4_P12ihipStream_tbEUlT_E0_NS1_11comp_targetILNS1_3genE10ELNS1_11target_archE1201ELNS1_3gpuE5ELNS1_3repE0EEENS1_30default_config_static_selectorELNS0_4arch9wavefront6targetE1EEEvSF_.kd
    .uniform_work_group_size: 1
    .uses_dynamic_stack: false
    .vgpr_count:     0
    .vgpr_spill_count: 0
    .wavefront_size: 64
  - .args:
      - .offset:         0
        .size:           56
        .value_kind:     by_value
    .group_segment_fixed_size: 0
    .kernarg_segment_align: 8
    .kernarg_segment_size: 56
    .language:       OpenCL C
    .language_version:
      - 2
      - 0
    .max_flat_workgroup_size: 256
    .name:           _ZN7rocprim17ROCPRIM_400000_NS6detail17trampoline_kernelINS0_14default_configENS1_22reduce_config_selectorIfEEZNS1_11reduce_implILb1ES3_PfS7_fN6thrust23THRUST_200600_302600_NS4plusIfEEEE10hipError_tPvRmT1_T2_T3_mT4_P12ihipStream_tbEUlT_E0_NS1_11comp_targetILNS1_3genE10ELNS1_11target_archE1200ELNS1_3gpuE4ELNS1_3repE0EEENS1_30default_config_static_selectorELNS0_4arch9wavefront6targetE1EEEvSF_
    .private_segment_fixed_size: 0
    .sgpr_count:     4
    .sgpr_spill_count: 0
    .symbol:         _ZN7rocprim17ROCPRIM_400000_NS6detail17trampoline_kernelINS0_14default_configENS1_22reduce_config_selectorIfEEZNS1_11reduce_implILb1ES3_PfS7_fN6thrust23THRUST_200600_302600_NS4plusIfEEEE10hipError_tPvRmT1_T2_T3_mT4_P12ihipStream_tbEUlT_E0_NS1_11comp_targetILNS1_3genE10ELNS1_11target_archE1200ELNS1_3gpuE4ELNS1_3repE0EEENS1_30default_config_static_selectorELNS0_4arch9wavefront6targetE1EEEvSF_.kd
    .uniform_work_group_size: 1
    .uses_dynamic_stack: false
    .vgpr_count:     0
    .vgpr_spill_count: 0
    .wavefront_size: 64
  - .args:
      - .offset:         0
        .size:           56
        .value_kind:     by_value
    .group_segment_fixed_size: 0
    .kernarg_segment_align: 8
    .kernarg_segment_size: 56
    .language:       OpenCL C
    .language_version:
      - 2
      - 0
    .max_flat_workgroup_size: 256
    .name:           _ZN7rocprim17ROCPRIM_400000_NS6detail17trampoline_kernelINS0_14default_configENS1_22reduce_config_selectorIfEEZNS1_11reduce_implILb1ES3_PfS7_fN6thrust23THRUST_200600_302600_NS4plusIfEEEE10hipError_tPvRmT1_T2_T3_mT4_P12ihipStream_tbEUlT_E0_NS1_11comp_targetILNS1_3genE9ELNS1_11target_archE1100ELNS1_3gpuE3ELNS1_3repE0EEENS1_30default_config_static_selectorELNS0_4arch9wavefront6targetE1EEEvSF_
    .private_segment_fixed_size: 0
    .sgpr_count:     4
    .sgpr_spill_count: 0
    .symbol:         _ZN7rocprim17ROCPRIM_400000_NS6detail17trampoline_kernelINS0_14default_configENS1_22reduce_config_selectorIfEEZNS1_11reduce_implILb1ES3_PfS7_fN6thrust23THRUST_200600_302600_NS4plusIfEEEE10hipError_tPvRmT1_T2_T3_mT4_P12ihipStream_tbEUlT_E0_NS1_11comp_targetILNS1_3genE9ELNS1_11target_archE1100ELNS1_3gpuE3ELNS1_3repE0EEENS1_30default_config_static_selectorELNS0_4arch9wavefront6targetE1EEEvSF_.kd
    .uniform_work_group_size: 1
    .uses_dynamic_stack: false
    .vgpr_count:     0
    .vgpr_spill_count: 0
    .wavefront_size: 64
  - .args:
      - .offset:         0
        .size:           56
        .value_kind:     by_value
    .group_segment_fixed_size: 0
    .kernarg_segment_align: 8
    .kernarg_segment_size: 56
    .language:       OpenCL C
    .language_version:
      - 2
      - 0
    .max_flat_workgroup_size: 256
    .name:           _ZN7rocprim17ROCPRIM_400000_NS6detail17trampoline_kernelINS0_14default_configENS1_22reduce_config_selectorIfEEZNS1_11reduce_implILb1ES3_PfS7_fN6thrust23THRUST_200600_302600_NS4plusIfEEEE10hipError_tPvRmT1_T2_T3_mT4_P12ihipStream_tbEUlT_E0_NS1_11comp_targetILNS1_3genE8ELNS1_11target_archE1030ELNS1_3gpuE2ELNS1_3repE0EEENS1_30default_config_static_selectorELNS0_4arch9wavefront6targetE1EEEvSF_
    .private_segment_fixed_size: 0
    .sgpr_count:     4
    .sgpr_spill_count: 0
    .symbol:         _ZN7rocprim17ROCPRIM_400000_NS6detail17trampoline_kernelINS0_14default_configENS1_22reduce_config_selectorIfEEZNS1_11reduce_implILb1ES3_PfS7_fN6thrust23THRUST_200600_302600_NS4plusIfEEEE10hipError_tPvRmT1_T2_T3_mT4_P12ihipStream_tbEUlT_E0_NS1_11comp_targetILNS1_3genE8ELNS1_11target_archE1030ELNS1_3gpuE2ELNS1_3repE0EEENS1_30default_config_static_selectorELNS0_4arch9wavefront6targetE1EEEvSF_.kd
    .uniform_work_group_size: 1
    .uses_dynamic_stack: false
    .vgpr_count:     0
    .vgpr_spill_count: 0
    .wavefront_size: 64
  - .args:
      - .offset:         0
        .size:           40
        .value_kind:     by_value
    .group_segment_fixed_size: 0
    .kernarg_segment_align: 8
    .kernarg_segment_size: 40
    .language:       OpenCL C
    .language_version:
      - 2
      - 0
    .max_flat_workgroup_size: 256
    .name:           _ZN7rocprim17ROCPRIM_400000_NS6detail17trampoline_kernelINS0_14default_configENS1_22reduce_config_selectorIfEEZNS1_11reduce_implILb1ES3_PfS7_fN6thrust23THRUST_200600_302600_NS4plusIfEEEE10hipError_tPvRmT1_T2_T3_mT4_P12ihipStream_tbEUlT_E1_NS1_11comp_targetILNS1_3genE0ELNS1_11target_archE4294967295ELNS1_3gpuE0ELNS1_3repE0EEENS1_30default_config_static_selectorELNS0_4arch9wavefront6targetE1EEEvSF_
    .private_segment_fixed_size: 0
    .sgpr_count:     4
    .sgpr_spill_count: 0
    .symbol:         _ZN7rocprim17ROCPRIM_400000_NS6detail17trampoline_kernelINS0_14default_configENS1_22reduce_config_selectorIfEEZNS1_11reduce_implILb1ES3_PfS7_fN6thrust23THRUST_200600_302600_NS4plusIfEEEE10hipError_tPvRmT1_T2_T3_mT4_P12ihipStream_tbEUlT_E1_NS1_11comp_targetILNS1_3genE0ELNS1_11target_archE4294967295ELNS1_3gpuE0ELNS1_3repE0EEENS1_30default_config_static_selectorELNS0_4arch9wavefront6targetE1EEEvSF_.kd
    .uniform_work_group_size: 1
    .uses_dynamic_stack: false
    .vgpr_count:     0
    .vgpr_spill_count: 0
    .wavefront_size: 64
  - .args:
      - .offset:         0
        .size:           40
        .value_kind:     by_value
    .group_segment_fixed_size: 0
    .kernarg_segment_align: 8
    .kernarg_segment_size: 40
    .language:       OpenCL C
    .language_version:
      - 2
      - 0
    .max_flat_workgroup_size: 128
    .name:           _ZN7rocprim17ROCPRIM_400000_NS6detail17trampoline_kernelINS0_14default_configENS1_22reduce_config_selectorIfEEZNS1_11reduce_implILb1ES3_PfS7_fN6thrust23THRUST_200600_302600_NS4plusIfEEEE10hipError_tPvRmT1_T2_T3_mT4_P12ihipStream_tbEUlT_E1_NS1_11comp_targetILNS1_3genE5ELNS1_11target_archE942ELNS1_3gpuE9ELNS1_3repE0EEENS1_30default_config_static_selectorELNS0_4arch9wavefront6targetE1EEEvSF_
    .private_segment_fixed_size: 0
    .sgpr_count:     4
    .sgpr_spill_count: 0
    .symbol:         _ZN7rocprim17ROCPRIM_400000_NS6detail17trampoline_kernelINS0_14default_configENS1_22reduce_config_selectorIfEEZNS1_11reduce_implILb1ES3_PfS7_fN6thrust23THRUST_200600_302600_NS4plusIfEEEE10hipError_tPvRmT1_T2_T3_mT4_P12ihipStream_tbEUlT_E1_NS1_11comp_targetILNS1_3genE5ELNS1_11target_archE942ELNS1_3gpuE9ELNS1_3repE0EEENS1_30default_config_static_selectorELNS0_4arch9wavefront6targetE1EEEvSF_.kd
    .uniform_work_group_size: 1
    .uses_dynamic_stack: false
    .vgpr_count:     0
    .vgpr_spill_count: 0
    .wavefront_size: 64
  - .args:
      - .offset:         0
        .size:           40
        .value_kind:     by_value
    .group_segment_fixed_size: 0
    .kernarg_segment_align: 8
    .kernarg_segment_size: 40
    .language:       OpenCL C
    .language_version:
      - 2
      - 0
    .max_flat_workgroup_size: 128
    .name:           _ZN7rocprim17ROCPRIM_400000_NS6detail17trampoline_kernelINS0_14default_configENS1_22reduce_config_selectorIfEEZNS1_11reduce_implILb1ES3_PfS7_fN6thrust23THRUST_200600_302600_NS4plusIfEEEE10hipError_tPvRmT1_T2_T3_mT4_P12ihipStream_tbEUlT_E1_NS1_11comp_targetILNS1_3genE4ELNS1_11target_archE910ELNS1_3gpuE8ELNS1_3repE0EEENS1_30default_config_static_selectorELNS0_4arch9wavefront6targetE1EEEvSF_
    .private_segment_fixed_size: 0
    .sgpr_count:     4
    .sgpr_spill_count: 0
    .symbol:         _ZN7rocprim17ROCPRIM_400000_NS6detail17trampoline_kernelINS0_14default_configENS1_22reduce_config_selectorIfEEZNS1_11reduce_implILb1ES3_PfS7_fN6thrust23THRUST_200600_302600_NS4plusIfEEEE10hipError_tPvRmT1_T2_T3_mT4_P12ihipStream_tbEUlT_E1_NS1_11comp_targetILNS1_3genE4ELNS1_11target_archE910ELNS1_3gpuE8ELNS1_3repE0EEENS1_30default_config_static_selectorELNS0_4arch9wavefront6targetE1EEEvSF_.kd
    .uniform_work_group_size: 1
    .uses_dynamic_stack: false
    .vgpr_count:     0
    .vgpr_spill_count: 0
    .wavefront_size: 64
  - .args:
      - .offset:         0
        .size:           40
        .value_kind:     by_value
    .group_segment_fixed_size: 0
    .kernarg_segment_align: 8
    .kernarg_segment_size: 40
    .language:       OpenCL C
    .language_version:
      - 2
      - 0
    .max_flat_workgroup_size: 256
    .name:           _ZN7rocprim17ROCPRIM_400000_NS6detail17trampoline_kernelINS0_14default_configENS1_22reduce_config_selectorIfEEZNS1_11reduce_implILb1ES3_PfS7_fN6thrust23THRUST_200600_302600_NS4plusIfEEEE10hipError_tPvRmT1_T2_T3_mT4_P12ihipStream_tbEUlT_E1_NS1_11comp_targetILNS1_3genE3ELNS1_11target_archE908ELNS1_3gpuE7ELNS1_3repE0EEENS1_30default_config_static_selectorELNS0_4arch9wavefront6targetE1EEEvSF_
    .private_segment_fixed_size: 0
    .sgpr_count:     4
    .sgpr_spill_count: 0
    .symbol:         _ZN7rocprim17ROCPRIM_400000_NS6detail17trampoline_kernelINS0_14default_configENS1_22reduce_config_selectorIfEEZNS1_11reduce_implILb1ES3_PfS7_fN6thrust23THRUST_200600_302600_NS4plusIfEEEE10hipError_tPvRmT1_T2_T3_mT4_P12ihipStream_tbEUlT_E1_NS1_11comp_targetILNS1_3genE3ELNS1_11target_archE908ELNS1_3gpuE7ELNS1_3repE0EEENS1_30default_config_static_selectorELNS0_4arch9wavefront6targetE1EEEvSF_.kd
    .uniform_work_group_size: 1
    .uses_dynamic_stack: false
    .vgpr_count:     0
    .vgpr_spill_count: 0
    .wavefront_size: 64
  - .args:
      - .offset:         0
        .size:           40
        .value_kind:     by_value
    .group_segment_fixed_size: 112
    .kernarg_segment_align: 8
    .kernarg_segment_size: 40
    .language:       OpenCL C
    .language_version:
      - 2
      - 0
    .max_flat_workgroup_size: 256
    .name:           _ZN7rocprim17ROCPRIM_400000_NS6detail17trampoline_kernelINS0_14default_configENS1_22reduce_config_selectorIfEEZNS1_11reduce_implILb1ES3_PfS7_fN6thrust23THRUST_200600_302600_NS4plusIfEEEE10hipError_tPvRmT1_T2_T3_mT4_P12ihipStream_tbEUlT_E1_NS1_11comp_targetILNS1_3genE2ELNS1_11target_archE906ELNS1_3gpuE6ELNS1_3repE0EEENS1_30default_config_static_selectorELNS0_4arch9wavefront6targetE1EEEvSF_
    .private_segment_fixed_size: 0
    .sgpr_count:     81
    .sgpr_spill_count: 0
    .symbol:         _ZN7rocprim17ROCPRIM_400000_NS6detail17trampoline_kernelINS0_14default_configENS1_22reduce_config_selectorIfEEZNS1_11reduce_implILb1ES3_PfS7_fN6thrust23THRUST_200600_302600_NS4plusIfEEEE10hipError_tPvRmT1_T2_T3_mT4_P12ihipStream_tbEUlT_E1_NS1_11comp_targetILNS1_3genE2ELNS1_11target_archE906ELNS1_3gpuE6ELNS1_3repE0EEENS1_30default_config_static_selectorELNS0_4arch9wavefront6targetE1EEEvSF_.kd
    .uniform_work_group_size: 1
    .uses_dynamic_stack: false
    .vgpr_count:     39
    .vgpr_spill_count: 0
    .wavefront_size: 64
  - .args:
      - .offset:         0
        .size:           40
        .value_kind:     by_value
    .group_segment_fixed_size: 0
    .kernarg_segment_align: 8
    .kernarg_segment_size: 40
    .language:       OpenCL C
    .language_version:
      - 2
      - 0
    .max_flat_workgroup_size: 256
    .name:           _ZN7rocprim17ROCPRIM_400000_NS6detail17trampoline_kernelINS0_14default_configENS1_22reduce_config_selectorIfEEZNS1_11reduce_implILb1ES3_PfS7_fN6thrust23THRUST_200600_302600_NS4plusIfEEEE10hipError_tPvRmT1_T2_T3_mT4_P12ihipStream_tbEUlT_E1_NS1_11comp_targetILNS1_3genE10ELNS1_11target_archE1201ELNS1_3gpuE5ELNS1_3repE0EEENS1_30default_config_static_selectorELNS0_4arch9wavefront6targetE1EEEvSF_
    .private_segment_fixed_size: 0
    .sgpr_count:     4
    .sgpr_spill_count: 0
    .symbol:         _ZN7rocprim17ROCPRIM_400000_NS6detail17trampoline_kernelINS0_14default_configENS1_22reduce_config_selectorIfEEZNS1_11reduce_implILb1ES3_PfS7_fN6thrust23THRUST_200600_302600_NS4plusIfEEEE10hipError_tPvRmT1_T2_T3_mT4_P12ihipStream_tbEUlT_E1_NS1_11comp_targetILNS1_3genE10ELNS1_11target_archE1201ELNS1_3gpuE5ELNS1_3repE0EEENS1_30default_config_static_selectorELNS0_4arch9wavefront6targetE1EEEvSF_.kd
    .uniform_work_group_size: 1
    .uses_dynamic_stack: false
    .vgpr_count:     0
    .vgpr_spill_count: 0
    .wavefront_size: 64
  - .args:
      - .offset:         0
        .size:           40
        .value_kind:     by_value
    .group_segment_fixed_size: 0
    .kernarg_segment_align: 8
    .kernarg_segment_size: 40
    .language:       OpenCL C
    .language_version:
      - 2
      - 0
    .max_flat_workgroup_size: 256
    .name:           _ZN7rocprim17ROCPRIM_400000_NS6detail17trampoline_kernelINS0_14default_configENS1_22reduce_config_selectorIfEEZNS1_11reduce_implILb1ES3_PfS7_fN6thrust23THRUST_200600_302600_NS4plusIfEEEE10hipError_tPvRmT1_T2_T3_mT4_P12ihipStream_tbEUlT_E1_NS1_11comp_targetILNS1_3genE10ELNS1_11target_archE1200ELNS1_3gpuE4ELNS1_3repE0EEENS1_30default_config_static_selectorELNS0_4arch9wavefront6targetE1EEEvSF_
    .private_segment_fixed_size: 0
    .sgpr_count:     4
    .sgpr_spill_count: 0
    .symbol:         _ZN7rocprim17ROCPRIM_400000_NS6detail17trampoline_kernelINS0_14default_configENS1_22reduce_config_selectorIfEEZNS1_11reduce_implILb1ES3_PfS7_fN6thrust23THRUST_200600_302600_NS4plusIfEEEE10hipError_tPvRmT1_T2_T3_mT4_P12ihipStream_tbEUlT_E1_NS1_11comp_targetILNS1_3genE10ELNS1_11target_archE1200ELNS1_3gpuE4ELNS1_3repE0EEENS1_30default_config_static_selectorELNS0_4arch9wavefront6targetE1EEEvSF_.kd
    .uniform_work_group_size: 1
    .uses_dynamic_stack: false
    .vgpr_count:     0
    .vgpr_spill_count: 0
    .wavefront_size: 64
  - .args:
      - .offset:         0
        .size:           40
        .value_kind:     by_value
    .group_segment_fixed_size: 0
    .kernarg_segment_align: 8
    .kernarg_segment_size: 40
    .language:       OpenCL C
    .language_version:
      - 2
      - 0
    .max_flat_workgroup_size: 256
    .name:           _ZN7rocprim17ROCPRIM_400000_NS6detail17trampoline_kernelINS0_14default_configENS1_22reduce_config_selectorIfEEZNS1_11reduce_implILb1ES3_PfS7_fN6thrust23THRUST_200600_302600_NS4plusIfEEEE10hipError_tPvRmT1_T2_T3_mT4_P12ihipStream_tbEUlT_E1_NS1_11comp_targetILNS1_3genE9ELNS1_11target_archE1100ELNS1_3gpuE3ELNS1_3repE0EEENS1_30default_config_static_selectorELNS0_4arch9wavefront6targetE1EEEvSF_
    .private_segment_fixed_size: 0
    .sgpr_count:     4
    .sgpr_spill_count: 0
    .symbol:         _ZN7rocprim17ROCPRIM_400000_NS6detail17trampoline_kernelINS0_14default_configENS1_22reduce_config_selectorIfEEZNS1_11reduce_implILb1ES3_PfS7_fN6thrust23THRUST_200600_302600_NS4plusIfEEEE10hipError_tPvRmT1_T2_T3_mT4_P12ihipStream_tbEUlT_E1_NS1_11comp_targetILNS1_3genE9ELNS1_11target_archE1100ELNS1_3gpuE3ELNS1_3repE0EEENS1_30default_config_static_selectorELNS0_4arch9wavefront6targetE1EEEvSF_.kd
    .uniform_work_group_size: 1
    .uses_dynamic_stack: false
    .vgpr_count:     0
    .vgpr_spill_count: 0
    .wavefront_size: 64
  - .args:
      - .offset:         0
        .size:           40
        .value_kind:     by_value
    .group_segment_fixed_size: 0
    .kernarg_segment_align: 8
    .kernarg_segment_size: 40
    .language:       OpenCL C
    .language_version:
      - 2
      - 0
    .max_flat_workgroup_size: 256
    .name:           _ZN7rocprim17ROCPRIM_400000_NS6detail17trampoline_kernelINS0_14default_configENS1_22reduce_config_selectorIfEEZNS1_11reduce_implILb1ES3_PfS7_fN6thrust23THRUST_200600_302600_NS4plusIfEEEE10hipError_tPvRmT1_T2_T3_mT4_P12ihipStream_tbEUlT_E1_NS1_11comp_targetILNS1_3genE8ELNS1_11target_archE1030ELNS1_3gpuE2ELNS1_3repE0EEENS1_30default_config_static_selectorELNS0_4arch9wavefront6targetE1EEEvSF_
    .private_segment_fixed_size: 0
    .sgpr_count:     4
    .sgpr_spill_count: 0
    .symbol:         _ZN7rocprim17ROCPRIM_400000_NS6detail17trampoline_kernelINS0_14default_configENS1_22reduce_config_selectorIfEEZNS1_11reduce_implILb1ES3_PfS7_fN6thrust23THRUST_200600_302600_NS4plusIfEEEE10hipError_tPvRmT1_T2_T3_mT4_P12ihipStream_tbEUlT_E1_NS1_11comp_targetILNS1_3genE8ELNS1_11target_archE1030ELNS1_3gpuE2ELNS1_3repE0EEENS1_30default_config_static_selectorELNS0_4arch9wavefront6targetE1EEEvSF_.kd
    .uniform_work_group_size: 1
    .uses_dynamic_stack: false
    .vgpr_count:     0
    .vgpr_spill_count: 0
    .wavefront_size: 64
  - .args:
      - .offset:         0
        .size:           56
        .value_kind:     by_value
    .group_segment_fixed_size: 0
    .kernarg_segment_align: 8
    .kernarg_segment_size: 56
    .language:       OpenCL C
    .language_version:
      - 2
      - 0
    .max_flat_workgroup_size: 256
    .name:           _ZN7rocprim17ROCPRIM_400000_NS6detail17trampoline_kernelINS0_14default_configENS1_22reduce_config_selectorIfEEZNS1_11reduce_implILb1ES3_N6thrust23THRUST_200600_302600_NS11hip_rocprim26transform_input_iterator_tIfNS8_17counting_iteratorIiNS8_11use_defaultESC_SC_EE11estimate_piEEPffNS8_4plusIfEEEE10hipError_tPvRmT1_T2_T3_mT4_P12ihipStream_tbEUlT_E0_NS1_11comp_targetILNS1_3genE0ELNS1_11target_archE4294967295ELNS1_3gpuE0ELNS1_3repE0EEENS1_30default_config_static_selectorELNS0_4arch9wavefront6targetE1EEEvSM_
    .private_segment_fixed_size: 0
    .sgpr_count:     4
    .sgpr_spill_count: 0
    .symbol:         _ZN7rocprim17ROCPRIM_400000_NS6detail17trampoline_kernelINS0_14default_configENS1_22reduce_config_selectorIfEEZNS1_11reduce_implILb1ES3_N6thrust23THRUST_200600_302600_NS11hip_rocprim26transform_input_iterator_tIfNS8_17counting_iteratorIiNS8_11use_defaultESC_SC_EE11estimate_piEEPffNS8_4plusIfEEEE10hipError_tPvRmT1_T2_T3_mT4_P12ihipStream_tbEUlT_E0_NS1_11comp_targetILNS1_3genE0ELNS1_11target_archE4294967295ELNS1_3gpuE0ELNS1_3repE0EEENS1_30default_config_static_selectorELNS0_4arch9wavefront6targetE1EEEvSM_.kd
    .uniform_work_group_size: 1
    .uses_dynamic_stack: false
    .vgpr_count:     0
    .vgpr_spill_count: 0
    .wavefront_size: 64
  - .args:
      - .offset:         0
        .size:           56
        .value_kind:     by_value
    .group_segment_fixed_size: 0
    .kernarg_segment_align: 8
    .kernarg_segment_size: 56
    .language:       OpenCL C
    .language_version:
      - 2
      - 0
    .max_flat_workgroup_size: 128
    .name:           _ZN7rocprim17ROCPRIM_400000_NS6detail17trampoline_kernelINS0_14default_configENS1_22reduce_config_selectorIfEEZNS1_11reduce_implILb1ES3_N6thrust23THRUST_200600_302600_NS11hip_rocprim26transform_input_iterator_tIfNS8_17counting_iteratorIiNS8_11use_defaultESC_SC_EE11estimate_piEEPffNS8_4plusIfEEEE10hipError_tPvRmT1_T2_T3_mT4_P12ihipStream_tbEUlT_E0_NS1_11comp_targetILNS1_3genE5ELNS1_11target_archE942ELNS1_3gpuE9ELNS1_3repE0EEENS1_30default_config_static_selectorELNS0_4arch9wavefront6targetE1EEEvSM_
    .private_segment_fixed_size: 0
    .sgpr_count:     4
    .sgpr_spill_count: 0
    .symbol:         _ZN7rocprim17ROCPRIM_400000_NS6detail17trampoline_kernelINS0_14default_configENS1_22reduce_config_selectorIfEEZNS1_11reduce_implILb1ES3_N6thrust23THRUST_200600_302600_NS11hip_rocprim26transform_input_iterator_tIfNS8_17counting_iteratorIiNS8_11use_defaultESC_SC_EE11estimate_piEEPffNS8_4plusIfEEEE10hipError_tPvRmT1_T2_T3_mT4_P12ihipStream_tbEUlT_E0_NS1_11comp_targetILNS1_3genE5ELNS1_11target_archE942ELNS1_3gpuE9ELNS1_3repE0EEENS1_30default_config_static_selectorELNS0_4arch9wavefront6targetE1EEEvSM_.kd
    .uniform_work_group_size: 1
    .uses_dynamic_stack: false
    .vgpr_count:     0
    .vgpr_spill_count: 0
    .wavefront_size: 64
  - .args:
      - .offset:         0
        .size:           56
        .value_kind:     by_value
    .group_segment_fixed_size: 0
    .kernarg_segment_align: 8
    .kernarg_segment_size: 56
    .language:       OpenCL C
    .language_version:
      - 2
      - 0
    .max_flat_workgroup_size: 128
    .name:           _ZN7rocprim17ROCPRIM_400000_NS6detail17trampoline_kernelINS0_14default_configENS1_22reduce_config_selectorIfEEZNS1_11reduce_implILb1ES3_N6thrust23THRUST_200600_302600_NS11hip_rocprim26transform_input_iterator_tIfNS8_17counting_iteratorIiNS8_11use_defaultESC_SC_EE11estimate_piEEPffNS8_4plusIfEEEE10hipError_tPvRmT1_T2_T3_mT4_P12ihipStream_tbEUlT_E0_NS1_11comp_targetILNS1_3genE4ELNS1_11target_archE910ELNS1_3gpuE8ELNS1_3repE0EEENS1_30default_config_static_selectorELNS0_4arch9wavefront6targetE1EEEvSM_
    .private_segment_fixed_size: 0
    .sgpr_count:     4
    .sgpr_spill_count: 0
    .symbol:         _ZN7rocprim17ROCPRIM_400000_NS6detail17trampoline_kernelINS0_14default_configENS1_22reduce_config_selectorIfEEZNS1_11reduce_implILb1ES3_N6thrust23THRUST_200600_302600_NS11hip_rocprim26transform_input_iterator_tIfNS8_17counting_iteratorIiNS8_11use_defaultESC_SC_EE11estimate_piEEPffNS8_4plusIfEEEE10hipError_tPvRmT1_T2_T3_mT4_P12ihipStream_tbEUlT_E0_NS1_11comp_targetILNS1_3genE4ELNS1_11target_archE910ELNS1_3gpuE8ELNS1_3repE0EEENS1_30default_config_static_selectorELNS0_4arch9wavefront6targetE1EEEvSM_.kd
    .uniform_work_group_size: 1
    .uses_dynamic_stack: false
    .vgpr_count:     0
    .vgpr_spill_count: 0
    .wavefront_size: 64
  - .args:
      - .offset:         0
        .size:           56
        .value_kind:     by_value
    .group_segment_fixed_size: 0
    .kernarg_segment_align: 8
    .kernarg_segment_size: 56
    .language:       OpenCL C
    .language_version:
      - 2
      - 0
    .max_flat_workgroup_size: 256
    .name:           _ZN7rocprim17ROCPRIM_400000_NS6detail17trampoline_kernelINS0_14default_configENS1_22reduce_config_selectorIfEEZNS1_11reduce_implILb1ES3_N6thrust23THRUST_200600_302600_NS11hip_rocprim26transform_input_iterator_tIfNS8_17counting_iteratorIiNS8_11use_defaultESC_SC_EE11estimate_piEEPffNS8_4plusIfEEEE10hipError_tPvRmT1_T2_T3_mT4_P12ihipStream_tbEUlT_E0_NS1_11comp_targetILNS1_3genE3ELNS1_11target_archE908ELNS1_3gpuE7ELNS1_3repE0EEENS1_30default_config_static_selectorELNS0_4arch9wavefront6targetE1EEEvSM_
    .private_segment_fixed_size: 0
    .sgpr_count:     4
    .sgpr_spill_count: 0
    .symbol:         _ZN7rocprim17ROCPRIM_400000_NS6detail17trampoline_kernelINS0_14default_configENS1_22reduce_config_selectorIfEEZNS1_11reduce_implILb1ES3_N6thrust23THRUST_200600_302600_NS11hip_rocprim26transform_input_iterator_tIfNS8_17counting_iteratorIiNS8_11use_defaultESC_SC_EE11estimate_piEEPffNS8_4plusIfEEEE10hipError_tPvRmT1_T2_T3_mT4_P12ihipStream_tbEUlT_E0_NS1_11comp_targetILNS1_3genE3ELNS1_11target_archE908ELNS1_3gpuE7ELNS1_3repE0EEENS1_30default_config_static_selectorELNS0_4arch9wavefront6targetE1EEEvSM_.kd
    .uniform_work_group_size: 1
    .uses_dynamic_stack: false
    .vgpr_count:     0
    .vgpr_spill_count: 0
    .wavefront_size: 64
  - .args:
      - .offset:         0
        .size:           56
        .value_kind:     by_value
    .group_segment_fixed_size: 32
    .kernarg_segment_align: 8
    .kernarg_segment_size: 56
    .language:       OpenCL C
    .language_version:
      - 2
      - 0
    .max_flat_workgroup_size: 256
    .name:           _ZN7rocprim17ROCPRIM_400000_NS6detail17trampoline_kernelINS0_14default_configENS1_22reduce_config_selectorIfEEZNS1_11reduce_implILb1ES3_N6thrust23THRUST_200600_302600_NS11hip_rocprim26transform_input_iterator_tIfNS8_17counting_iteratorIiNS8_11use_defaultESC_SC_EE11estimate_piEEPffNS8_4plusIfEEEE10hipError_tPvRmT1_T2_T3_mT4_P12ihipStream_tbEUlT_E0_NS1_11comp_targetILNS1_3genE2ELNS1_11target_archE906ELNS1_3gpuE6ELNS1_3repE0EEENS1_30default_config_static_selectorELNS0_4arch9wavefront6targetE1EEEvSM_
    .private_segment_fixed_size: 0
    .sgpr_count:     36
    .sgpr_spill_count: 0
    .symbol:         _ZN7rocprim17ROCPRIM_400000_NS6detail17trampoline_kernelINS0_14default_configENS1_22reduce_config_selectorIfEEZNS1_11reduce_implILb1ES3_N6thrust23THRUST_200600_302600_NS11hip_rocprim26transform_input_iterator_tIfNS8_17counting_iteratorIiNS8_11use_defaultESC_SC_EE11estimate_piEEPffNS8_4plusIfEEEE10hipError_tPvRmT1_T2_T3_mT4_P12ihipStream_tbEUlT_E0_NS1_11comp_targetILNS1_3genE2ELNS1_11target_archE906ELNS1_3gpuE6ELNS1_3repE0EEENS1_30default_config_static_selectorELNS0_4arch9wavefront6targetE1EEEvSM_.kd
    .uniform_work_group_size: 1
    .uses_dynamic_stack: false
    .vgpr_count:     16
    .vgpr_spill_count: 0
    .wavefront_size: 64
  - .args:
      - .offset:         0
        .size:           56
        .value_kind:     by_value
    .group_segment_fixed_size: 0
    .kernarg_segment_align: 8
    .kernarg_segment_size: 56
    .language:       OpenCL C
    .language_version:
      - 2
      - 0
    .max_flat_workgroup_size: 256
    .name:           _ZN7rocprim17ROCPRIM_400000_NS6detail17trampoline_kernelINS0_14default_configENS1_22reduce_config_selectorIfEEZNS1_11reduce_implILb1ES3_N6thrust23THRUST_200600_302600_NS11hip_rocprim26transform_input_iterator_tIfNS8_17counting_iteratorIiNS8_11use_defaultESC_SC_EE11estimate_piEEPffNS8_4plusIfEEEE10hipError_tPvRmT1_T2_T3_mT4_P12ihipStream_tbEUlT_E0_NS1_11comp_targetILNS1_3genE10ELNS1_11target_archE1201ELNS1_3gpuE5ELNS1_3repE0EEENS1_30default_config_static_selectorELNS0_4arch9wavefront6targetE1EEEvSM_
    .private_segment_fixed_size: 0
    .sgpr_count:     4
    .sgpr_spill_count: 0
    .symbol:         _ZN7rocprim17ROCPRIM_400000_NS6detail17trampoline_kernelINS0_14default_configENS1_22reduce_config_selectorIfEEZNS1_11reduce_implILb1ES3_N6thrust23THRUST_200600_302600_NS11hip_rocprim26transform_input_iterator_tIfNS8_17counting_iteratorIiNS8_11use_defaultESC_SC_EE11estimate_piEEPffNS8_4plusIfEEEE10hipError_tPvRmT1_T2_T3_mT4_P12ihipStream_tbEUlT_E0_NS1_11comp_targetILNS1_3genE10ELNS1_11target_archE1201ELNS1_3gpuE5ELNS1_3repE0EEENS1_30default_config_static_selectorELNS0_4arch9wavefront6targetE1EEEvSM_.kd
    .uniform_work_group_size: 1
    .uses_dynamic_stack: false
    .vgpr_count:     0
    .vgpr_spill_count: 0
    .wavefront_size: 64
  - .args:
      - .offset:         0
        .size:           56
        .value_kind:     by_value
    .group_segment_fixed_size: 0
    .kernarg_segment_align: 8
    .kernarg_segment_size: 56
    .language:       OpenCL C
    .language_version:
      - 2
      - 0
    .max_flat_workgroup_size: 256
    .name:           _ZN7rocprim17ROCPRIM_400000_NS6detail17trampoline_kernelINS0_14default_configENS1_22reduce_config_selectorIfEEZNS1_11reduce_implILb1ES3_N6thrust23THRUST_200600_302600_NS11hip_rocprim26transform_input_iterator_tIfNS8_17counting_iteratorIiNS8_11use_defaultESC_SC_EE11estimate_piEEPffNS8_4plusIfEEEE10hipError_tPvRmT1_T2_T3_mT4_P12ihipStream_tbEUlT_E0_NS1_11comp_targetILNS1_3genE10ELNS1_11target_archE1200ELNS1_3gpuE4ELNS1_3repE0EEENS1_30default_config_static_selectorELNS0_4arch9wavefront6targetE1EEEvSM_
    .private_segment_fixed_size: 0
    .sgpr_count:     4
    .sgpr_spill_count: 0
    .symbol:         _ZN7rocprim17ROCPRIM_400000_NS6detail17trampoline_kernelINS0_14default_configENS1_22reduce_config_selectorIfEEZNS1_11reduce_implILb1ES3_N6thrust23THRUST_200600_302600_NS11hip_rocprim26transform_input_iterator_tIfNS8_17counting_iteratorIiNS8_11use_defaultESC_SC_EE11estimate_piEEPffNS8_4plusIfEEEE10hipError_tPvRmT1_T2_T3_mT4_P12ihipStream_tbEUlT_E0_NS1_11comp_targetILNS1_3genE10ELNS1_11target_archE1200ELNS1_3gpuE4ELNS1_3repE0EEENS1_30default_config_static_selectorELNS0_4arch9wavefront6targetE1EEEvSM_.kd
    .uniform_work_group_size: 1
    .uses_dynamic_stack: false
    .vgpr_count:     0
    .vgpr_spill_count: 0
    .wavefront_size: 64
  - .args:
      - .offset:         0
        .size:           56
        .value_kind:     by_value
    .group_segment_fixed_size: 0
    .kernarg_segment_align: 8
    .kernarg_segment_size: 56
    .language:       OpenCL C
    .language_version:
      - 2
      - 0
    .max_flat_workgroup_size: 256
    .name:           _ZN7rocprim17ROCPRIM_400000_NS6detail17trampoline_kernelINS0_14default_configENS1_22reduce_config_selectorIfEEZNS1_11reduce_implILb1ES3_N6thrust23THRUST_200600_302600_NS11hip_rocprim26transform_input_iterator_tIfNS8_17counting_iteratorIiNS8_11use_defaultESC_SC_EE11estimate_piEEPffNS8_4plusIfEEEE10hipError_tPvRmT1_T2_T3_mT4_P12ihipStream_tbEUlT_E0_NS1_11comp_targetILNS1_3genE9ELNS1_11target_archE1100ELNS1_3gpuE3ELNS1_3repE0EEENS1_30default_config_static_selectorELNS0_4arch9wavefront6targetE1EEEvSM_
    .private_segment_fixed_size: 0
    .sgpr_count:     4
    .sgpr_spill_count: 0
    .symbol:         _ZN7rocprim17ROCPRIM_400000_NS6detail17trampoline_kernelINS0_14default_configENS1_22reduce_config_selectorIfEEZNS1_11reduce_implILb1ES3_N6thrust23THRUST_200600_302600_NS11hip_rocprim26transform_input_iterator_tIfNS8_17counting_iteratorIiNS8_11use_defaultESC_SC_EE11estimate_piEEPffNS8_4plusIfEEEE10hipError_tPvRmT1_T2_T3_mT4_P12ihipStream_tbEUlT_E0_NS1_11comp_targetILNS1_3genE9ELNS1_11target_archE1100ELNS1_3gpuE3ELNS1_3repE0EEENS1_30default_config_static_selectorELNS0_4arch9wavefront6targetE1EEEvSM_.kd
    .uniform_work_group_size: 1
    .uses_dynamic_stack: false
    .vgpr_count:     0
    .vgpr_spill_count: 0
    .wavefront_size: 64
  - .args:
      - .offset:         0
        .size:           56
        .value_kind:     by_value
    .group_segment_fixed_size: 0
    .kernarg_segment_align: 8
    .kernarg_segment_size: 56
    .language:       OpenCL C
    .language_version:
      - 2
      - 0
    .max_flat_workgroup_size: 256
    .name:           _ZN7rocprim17ROCPRIM_400000_NS6detail17trampoline_kernelINS0_14default_configENS1_22reduce_config_selectorIfEEZNS1_11reduce_implILb1ES3_N6thrust23THRUST_200600_302600_NS11hip_rocprim26transform_input_iterator_tIfNS8_17counting_iteratorIiNS8_11use_defaultESC_SC_EE11estimate_piEEPffNS8_4plusIfEEEE10hipError_tPvRmT1_T2_T3_mT4_P12ihipStream_tbEUlT_E0_NS1_11comp_targetILNS1_3genE8ELNS1_11target_archE1030ELNS1_3gpuE2ELNS1_3repE0EEENS1_30default_config_static_selectorELNS0_4arch9wavefront6targetE1EEEvSM_
    .private_segment_fixed_size: 0
    .sgpr_count:     4
    .sgpr_spill_count: 0
    .symbol:         _ZN7rocprim17ROCPRIM_400000_NS6detail17trampoline_kernelINS0_14default_configENS1_22reduce_config_selectorIfEEZNS1_11reduce_implILb1ES3_N6thrust23THRUST_200600_302600_NS11hip_rocprim26transform_input_iterator_tIfNS8_17counting_iteratorIiNS8_11use_defaultESC_SC_EE11estimate_piEEPffNS8_4plusIfEEEE10hipError_tPvRmT1_T2_T3_mT4_P12ihipStream_tbEUlT_E0_NS1_11comp_targetILNS1_3genE8ELNS1_11target_archE1030ELNS1_3gpuE2ELNS1_3repE0EEENS1_30default_config_static_selectorELNS0_4arch9wavefront6targetE1EEEvSM_.kd
    .uniform_work_group_size: 1
    .uses_dynamic_stack: false
    .vgpr_count:     0
    .vgpr_spill_count: 0
    .wavefront_size: 64
  - .args:
      - .offset:         0
        .size:           40
        .value_kind:     by_value
    .group_segment_fixed_size: 0
    .kernarg_segment_align: 8
    .kernarg_segment_size: 40
    .language:       OpenCL C
    .language_version:
      - 2
      - 0
    .max_flat_workgroup_size: 256
    .name:           _ZN7rocprim17ROCPRIM_400000_NS6detail17trampoline_kernelINS0_14default_configENS1_22reduce_config_selectorIfEEZNS1_11reduce_implILb1ES3_N6thrust23THRUST_200600_302600_NS11hip_rocprim26transform_input_iterator_tIfNS8_17counting_iteratorIiNS8_11use_defaultESC_SC_EE11estimate_piEEPffNS8_4plusIfEEEE10hipError_tPvRmT1_T2_T3_mT4_P12ihipStream_tbEUlT_E1_NS1_11comp_targetILNS1_3genE0ELNS1_11target_archE4294967295ELNS1_3gpuE0ELNS1_3repE0EEENS1_30default_config_static_selectorELNS0_4arch9wavefront6targetE1EEEvSM_
    .private_segment_fixed_size: 0
    .sgpr_count:     4
    .sgpr_spill_count: 0
    .symbol:         _ZN7rocprim17ROCPRIM_400000_NS6detail17trampoline_kernelINS0_14default_configENS1_22reduce_config_selectorIfEEZNS1_11reduce_implILb1ES3_N6thrust23THRUST_200600_302600_NS11hip_rocprim26transform_input_iterator_tIfNS8_17counting_iteratorIiNS8_11use_defaultESC_SC_EE11estimate_piEEPffNS8_4plusIfEEEE10hipError_tPvRmT1_T2_T3_mT4_P12ihipStream_tbEUlT_E1_NS1_11comp_targetILNS1_3genE0ELNS1_11target_archE4294967295ELNS1_3gpuE0ELNS1_3repE0EEENS1_30default_config_static_selectorELNS0_4arch9wavefront6targetE1EEEvSM_.kd
    .uniform_work_group_size: 1
    .uses_dynamic_stack: false
    .vgpr_count:     0
    .vgpr_spill_count: 0
    .wavefront_size: 64
  - .args:
      - .offset:         0
        .size:           40
        .value_kind:     by_value
    .group_segment_fixed_size: 0
    .kernarg_segment_align: 8
    .kernarg_segment_size: 40
    .language:       OpenCL C
    .language_version:
      - 2
      - 0
    .max_flat_workgroup_size: 128
    .name:           _ZN7rocprim17ROCPRIM_400000_NS6detail17trampoline_kernelINS0_14default_configENS1_22reduce_config_selectorIfEEZNS1_11reduce_implILb1ES3_N6thrust23THRUST_200600_302600_NS11hip_rocprim26transform_input_iterator_tIfNS8_17counting_iteratorIiNS8_11use_defaultESC_SC_EE11estimate_piEEPffNS8_4plusIfEEEE10hipError_tPvRmT1_T2_T3_mT4_P12ihipStream_tbEUlT_E1_NS1_11comp_targetILNS1_3genE5ELNS1_11target_archE942ELNS1_3gpuE9ELNS1_3repE0EEENS1_30default_config_static_selectorELNS0_4arch9wavefront6targetE1EEEvSM_
    .private_segment_fixed_size: 0
    .sgpr_count:     4
    .sgpr_spill_count: 0
    .symbol:         _ZN7rocprim17ROCPRIM_400000_NS6detail17trampoline_kernelINS0_14default_configENS1_22reduce_config_selectorIfEEZNS1_11reduce_implILb1ES3_N6thrust23THRUST_200600_302600_NS11hip_rocprim26transform_input_iterator_tIfNS8_17counting_iteratorIiNS8_11use_defaultESC_SC_EE11estimate_piEEPffNS8_4plusIfEEEE10hipError_tPvRmT1_T2_T3_mT4_P12ihipStream_tbEUlT_E1_NS1_11comp_targetILNS1_3genE5ELNS1_11target_archE942ELNS1_3gpuE9ELNS1_3repE0EEENS1_30default_config_static_selectorELNS0_4arch9wavefront6targetE1EEEvSM_.kd
    .uniform_work_group_size: 1
    .uses_dynamic_stack: false
    .vgpr_count:     0
    .vgpr_spill_count: 0
    .wavefront_size: 64
  - .args:
      - .offset:         0
        .size:           40
        .value_kind:     by_value
    .group_segment_fixed_size: 0
    .kernarg_segment_align: 8
    .kernarg_segment_size: 40
    .language:       OpenCL C
    .language_version:
      - 2
      - 0
    .max_flat_workgroup_size: 128
    .name:           _ZN7rocprim17ROCPRIM_400000_NS6detail17trampoline_kernelINS0_14default_configENS1_22reduce_config_selectorIfEEZNS1_11reduce_implILb1ES3_N6thrust23THRUST_200600_302600_NS11hip_rocprim26transform_input_iterator_tIfNS8_17counting_iteratorIiNS8_11use_defaultESC_SC_EE11estimate_piEEPffNS8_4plusIfEEEE10hipError_tPvRmT1_T2_T3_mT4_P12ihipStream_tbEUlT_E1_NS1_11comp_targetILNS1_3genE4ELNS1_11target_archE910ELNS1_3gpuE8ELNS1_3repE0EEENS1_30default_config_static_selectorELNS0_4arch9wavefront6targetE1EEEvSM_
    .private_segment_fixed_size: 0
    .sgpr_count:     4
    .sgpr_spill_count: 0
    .symbol:         _ZN7rocprim17ROCPRIM_400000_NS6detail17trampoline_kernelINS0_14default_configENS1_22reduce_config_selectorIfEEZNS1_11reduce_implILb1ES3_N6thrust23THRUST_200600_302600_NS11hip_rocprim26transform_input_iterator_tIfNS8_17counting_iteratorIiNS8_11use_defaultESC_SC_EE11estimate_piEEPffNS8_4plusIfEEEE10hipError_tPvRmT1_T2_T3_mT4_P12ihipStream_tbEUlT_E1_NS1_11comp_targetILNS1_3genE4ELNS1_11target_archE910ELNS1_3gpuE8ELNS1_3repE0EEENS1_30default_config_static_selectorELNS0_4arch9wavefront6targetE1EEEvSM_.kd
    .uniform_work_group_size: 1
    .uses_dynamic_stack: false
    .vgpr_count:     0
    .vgpr_spill_count: 0
    .wavefront_size: 64
  - .args:
      - .offset:         0
        .size:           40
        .value_kind:     by_value
    .group_segment_fixed_size: 0
    .kernarg_segment_align: 8
    .kernarg_segment_size: 40
    .language:       OpenCL C
    .language_version:
      - 2
      - 0
    .max_flat_workgroup_size: 256
    .name:           _ZN7rocprim17ROCPRIM_400000_NS6detail17trampoline_kernelINS0_14default_configENS1_22reduce_config_selectorIfEEZNS1_11reduce_implILb1ES3_N6thrust23THRUST_200600_302600_NS11hip_rocprim26transform_input_iterator_tIfNS8_17counting_iteratorIiNS8_11use_defaultESC_SC_EE11estimate_piEEPffNS8_4plusIfEEEE10hipError_tPvRmT1_T2_T3_mT4_P12ihipStream_tbEUlT_E1_NS1_11comp_targetILNS1_3genE3ELNS1_11target_archE908ELNS1_3gpuE7ELNS1_3repE0EEENS1_30default_config_static_selectorELNS0_4arch9wavefront6targetE1EEEvSM_
    .private_segment_fixed_size: 0
    .sgpr_count:     4
    .sgpr_spill_count: 0
    .symbol:         _ZN7rocprim17ROCPRIM_400000_NS6detail17trampoline_kernelINS0_14default_configENS1_22reduce_config_selectorIfEEZNS1_11reduce_implILb1ES3_N6thrust23THRUST_200600_302600_NS11hip_rocprim26transform_input_iterator_tIfNS8_17counting_iteratorIiNS8_11use_defaultESC_SC_EE11estimate_piEEPffNS8_4plusIfEEEE10hipError_tPvRmT1_T2_T3_mT4_P12ihipStream_tbEUlT_E1_NS1_11comp_targetILNS1_3genE3ELNS1_11target_archE908ELNS1_3gpuE7ELNS1_3repE0EEENS1_30default_config_static_selectorELNS0_4arch9wavefront6targetE1EEEvSM_.kd
    .uniform_work_group_size: 1
    .uses_dynamic_stack: false
    .vgpr_count:     0
    .vgpr_spill_count: 0
    .wavefront_size: 64
  - .args:
      - .offset:         0
        .size:           40
        .value_kind:     by_value
      - .offset:         40
        .size:           4
        .value_kind:     hidden_block_count_x
      - .offset:         44
        .size:           4
        .value_kind:     hidden_block_count_y
      - .offset:         48
        .size:           4
        .value_kind:     hidden_block_count_z
      - .offset:         52
        .size:           2
        .value_kind:     hidden_group_size_x
      - .offset:         54
        .size:           2
        .value_kind:     hidden_group_size_y
      - .offset:         56
        .size:           2
        .value_kind:     hidden_group_size_z
      - .offset:         58
        .size:           2
        .value_kind:     hidden_remainder_x
      - .offset:         60
        .size:           2
        .value_kind:     hidden_remainder_y
      - .offset:         62
        .size:           2
        .value_kind:     hidden_remainder_z
      - .offset:         80
        .size:           8
        .value_kind:     hidden_global_offset_x
      - .offset:         88
        .size:           8
        .value_kind:     hidden_global_offset_y
      - .offset:         96
        .size:           8
        .value_kind:     hidden_global_offset_z
      - .offset:         104
        .size:           2
        .value_kind:     hidden_grid_dims
    .group_segment_fixed_size: 112
    .kernarg_segment_align: 8
    .kernarg_segment_size: 296
    .language:       OpenCL C
    .language_version:
      - 2
      - 0
    .max_flat_workgroup_size: 256
    .name:           _ZN7rocprim17ROCPRIM_400000_NS6detail17trampoline_kernelINS0_14default_configENS1_22reduce_config_selectorIfEEZNS1_11reduce_implILb1ES3_N6thrust23THRUST_200600_302600_NS11hip_rocprim26transform_input_iterator_tIfNS8_17counting_iteratorIiNS8_11use_defaultESC_SC_EE11estimate_piEEPffNS8_4plusIfEEEE10hipError_tPvRmT1_T2_T3_mT4_P12ihipStream_tbEUlT_E1_NS1_11comp_targetILNS1_3genE2ELNS1_11target_archE906ELNS1_3gpuE6ELNS1_3repE0EEENS1_30default_config_static_selectorELNS0_4arch9wavefront6targetE1EEEvSM_
    .private_segment_fixed_size: 104
    .sgpr_count:     102
    .sgpr_spill_count: 0
    .symbol:         _ZN7rocprim17ROCPRIM_400000_NS6detail17trampoline_kernelINS0_14default_configENS1_22reduce_config_selectorIfEEZNS1_11reduce_implILb1ES3_N6thrust23THRUST_200600_302600_NS11hip_rocprim26transform_input_iterator_tIfNS8_17counting_iteratorIiNS8_11use_defaultESC_SC_EE11estimate_piEEPffNS8_4plusIfEEEE10hipError_tPvRmT1_T2_T3_mT4_P12ihipStream_tbEUlT_E1_NS1_11comp_targetILNS1_3genE2ELNS1_11target_archE906ELNS1_3gpuE6ELNS1_3repE0EEENS1_30default_config_static_selectorELNS0_4arch9wavefront6targetE1EEEvSM_.kd
    .uniform_work_group_size: 1
    .uses_dynamic_stack: false
    .vgpr_count:     84
    .vgpr_spill_count: 0
    .wavefront_size: 64
  - .args:
      - .offset:         0
        .size:           40
        .value_kind:     by_value
    .group_segment_fixed_size: 0
    .kernarg_segment_align: 8
    .kernarg_segment_size: 40
    .language:       OpenCL C
    .language_version:
      - 2
      - 0
    .max_flat_workgroup_size: 256
    .name:           _ZN7rocprim17ROCPRIM_400000_NS6detail17trampoline_kernelINS0_14default_configENS1_22reduce_config_selectorIfEEZNS1_11reduce_implILb1ES3_N6thrust23THRUST_200600_302600_NS11hip_rocprim26transform_input_iterator_tIfNS8_17counting_iteratorIiNS8_11use_defaultESC_SC_EE11estimate_piEEPffNS8_4plusIfEEEE10hipError_tPvRmT1_T2_T3_mT4_P12ihipStream_tbEUlT_E1_NS1_11comp_targetILNS1_3genE10ELNS1_11target_archE1201ELNS1_3gpuE5ELNS1_3repE0EEENS1_30default_config_static_selectorELNS0_4arch9wavefront6targetE1EEEvSM_
    .private_segment_fixed_size: 0
    .sgpr_count:     4
    .sgpr_spill_count: 0
    .symbol:         _ZN7rocprim17ROCPRIM_400000_NS6detail17trampoline_kernelINS0_14default_configENS1_22reduce_config_selectorIfEEZNS1_11reduce_implILb1ES3_N6thrust23THRUST_200600_302600_NS11hip_rocprim26transform_input_iterator_tIfNS8_17counting_iteratorIiNS8_11use_defaultESC_SC_EE11estimate_piEEPffNS8_4plusIfEEEE10hipError_tPvRmT1_T2_T3_mT4_P12ihipStream_tbEUlT_E1_NS1_11comp_targetILNS1_3genE10ELNS1_11target_archE1201ELNS1_3gpuE5ELNS1_3repE0EEENS1_30default_config_static_selectorELNS0_4arch9wavefront6targetE1EEEvSM_.kd
    .uniform_work_group_size: 1
    .uses_dynamic_stack: false
    .vgpr_count:     0
    .vgpr_spill_count: 0
    .wavefront_size: 64
  - .args:
      - .offset:         0
        .size:           40
        .value_kind:     by_value
    .group_segment_fixed_size: 0
    .kernarg_segment_align: 8
    .kernarg_segment_size: 40
    .language:       OpenCL C
    .language_version:
      - 2
      - 0
    .max_flat_workgroup_size: 256
    .name:           _ZN7rocprim17ROCPRIM_400000_NS6detail17trampoline_kernelINS0_14default_configENS1_22reduce_config_selectorIfEEZNS1_11reduce_implILb1ES3_N6thrust23THRUST_200600_302600_NS11hip_rocprim26transform_input_iterator_tIfNS8_17counting_iteratorIiNS8_11use_defaultESC_SC_EE11estimate_piEEPffNS8_4plusIfEEEE10hipError_tPvRmT1_T2_T3_mT4_P12ihipStream_tbEUlT_E1_NS1_11comp_targetILNS1_3genE10ELNS1_11target_archE1200ELNS1_3gpuE4ELNS1_3repE0EEENS1_30default_config_static_selectorELNS0_4arch9wavefront6targetE1EEEvSM_
    .private_segment_fixed_size: 0
    .sgpr_count:     4
    .sgpr_spill_count: 0
    .symbol:         _ZN7rocprim17ROCPRIM_400000_NS6detail17trampoline_kernelINS0_14default_configENS1_22reduce_config_selectorIfEEZNS1_11reduce_implILb1ES3_N6thrust23THRUST_200600_302600_NS11hip_rocprim26transform_input_iterator_tIfNS8_17counting_iteratorIiNS8_11use_defaultESC_SC_EE11estimate_piEEPffNS8_4plusIfEEEE10hipError_tPvRmT1_T2_T3_mT4_P12ihipStream_tbEUlT_E1_NS1_11comp_targetILNS1_3genE10ELNS1_11target_archE1200ELNS1_3gpuE4ELNS1_3repE0EEENS1_30default_config_static_selectorELNS0_4arch9wavefront6targetE1EEEvSM_.kd
    .uniform_work_group_size: 1
    .uses_dynamic_stack: false
    .vgpr_count:     0
    .vgpr_spill_count: 0
    .wavefront_size: 64
  - .args:
      - .offset:         0
        .size:           40
        .value_kind:     by_value
    .group_segment_fixed_size: 0
    .kernarg_segment_align: 8
    .kernarg_segment_size: 40
    .language:       OpenCL C
    .language_version:
      - 2
      - 0
    .max_flat_workgroup_size: 256
    .name:           _ZN7rocprim17ROCPRIM_400000_NS6detail17trampoline_kernelINS0_14default_configENS1_22reduce_config_selectorIfEEZNS1_11reduce_implILb1ES3_N6thrust23THRUST_200600_302600_NS11hip_rocprim26transform_input_iterator_tIfNS8_17counting_iteratorIiNS8_11use_defaultESC_SC_EE11estimate_piEEPffNS8_4plusIfEEEE10hipError_tPvRmT1_T2_T3_mT4_P12ihipStream_tbEUlT_E1_NS1_11comp_targetILNS1_3genE9ELNS1_11target_archE1100ELNS1_3gpuE3ELNS1_3repE0EEENS1_30default_config_static_selectorELNS0_4arch9wavefront6targetE1EEEvSM_
    .private_segment_fixed_size: 0
    .sgpr_count:     4
    .sgpr_spill_count: 0
    .symbol:         _ZN7rocprim17ROCPRIM_400000_NS6detail17trampoline_kernelINS0_14default_configENS1_22reduce_config_selectorIfEEZNS1_11reduce_implILb1ES3_N6thrust23THRUST_200600_302600_NS11hip_rocprim26transform_input_iterator_tIfNS8_17counting_iteratorIiNS8_11use_defaultESC_SC_EE11estimate_piEEPffNS8_4plusIfEEEE10hipError_tPvRmT1_T2_T3_mT4_P12ihipStream_tbEUlT_E1_NS1_11comp_targetILNS1_3genE9ELNS1_11target_archE1100ELNS1_3gpuE3ELNS1_3repE0EEENS1_30default_config_static_selectorELNS0_4arch9wavefront6targetE1EEEvSM_.kd
    .uniform_work_group_size: 1
    .uses_dynamic_stack: false
    .vgpr_count:     0
    .vgpr_spill_count: 0
    .wavefront_size: 64
  - .args:
      - .offset:         0
        .size:           40
        .value_kind:     by_value
    .group_segment_fixed_size: 0
    .kernarg_segment_align: 8
    .kernarg_segment_size: 40
    .language:       OpenCL C
    .language_version:
      - 2
      - 0
    .max_flat_workgroup_size: 256
    .name:           _ZN7rocprim17ROCPRIM_400000_NS6detail17trampoline_kernelINS0_14default_configENS1_22reduce_config_selectorIfEEZNS1_11reduce_implILb1ES3_N6thrust23THRUST_200600_302600_NS11hip_rocprim26transform_input_iterator_tIfNS8_17counting_iteratorIiNS8_11use_defaultESC_SC_EE11estimate_piEEPffNS8_4plusIfEEEE10hipError_tPvRmT1_T2_T3_mT4_P12ihipStream_tbEUlT_E1_NS1_11comp_targetILNS1_3genE8ELNS1_11target_archE1030ELNS1_3gpuE2ELNS1_3repE0EEENS1_30default_config_static_selectorELNS0_4arch9wavefront6targetE1EEEvSM_
    .private_segment_fixed_size: 0
    .sgpr_count:     4
    .sgpr_spill_count: 0
    .symbol:         _ZN7rocprim17ROCPRIM_400000_NS6detail17trampoline_kernelINS0_14default_configENS1_22reduce_config_selectorIfEEZNS1_11reduce_implILb1ES3_N6thrust23THRUST_200600_302600_NS11hip_rocprim26transform_input_iterator_tIfNS8_17counting_iteratorIiNS8_11use_defaultESC_SC_EE11estimate_piEEPffNS8_4plusIfEEEE10hipError_tPvRmT1_T2_T3_mT4_P12ihipStream_tbEUlT_E1_NS1_11comp_targetILNS1_3genE8ELNS1_11target_archE1030ELNS1_3gpuE2ELNS1_3repE0EEENS1_30default_config_static_selectorELNS0_4arch9wavefront6targetE1EEEvSM_.kd
    .uniform_work_group_size: 1
    .uses_dynamic_stack: false
    .vgpr_count:     0
    .vgpr_spill_count: 0
    .wavefront_size: 64
amdhsa.target:   amdgcn-amd-amdhsa--gfx906
amdhsa.version:
  - 1
  - 2
...

	.end_amdgpu_metadata
